;; amdgpu-corpus repo=ROCm/rocFFT kind=compiled arch=gfx1201 opt=O3
	.text
	.amdgcn_target "amdgcn-amd-amdhsa--gfx1201"
	.amdhsa_code_object_version 6
	.protected	bluestein_single_fwd_len1360_dim1_half_op_CI_CI ; -- Begin function bluestein_single_fwd_len1360_dim1_half_op_CI_CI
	.globl	bluestein_single_fwd_len1360_dim1_half_op_CI_CI
	.p2align	8
	.type	bluestein_single_fwd_len1360_dim1_half_op_CI_CI,@function
bluestein_single_fwd_len1360_dim1_half_op_CI_CI: ; @bluestein_single_fwd_len1360_dim1_half_op_CI_CI
; %bb.0:
	s_load_b128 s[4:7], s[0:1], 0x28
	v_mul_u32_u24_e32 v1, 0x304, v0
	s_mov_b32 s2, exec_lo
	s_delay_alu instid0(VALU_DEP_1) | instskip(NEXT) | instid1(VALU_DEP_1)
	v_lshrrev_b32_e32 v1, 16, v1
	v_mad_co_u64_u32 v[31:32], null, ttmp9, 3, v[1:2]
	v_mov_b32_e32 v32, 0
                                        ; kill: def $vgpr2 killed $sgpr0 killed $exec
	s_wait_kmcnt 0x0
	s_delay_alu instid0(VALU_DEP_1)
	v_cmpx_gt_u64_e64 s[4:5], v[31:32]
	s_cbranch_execz .LBB0_23
; %bb.1:
	v_mul_hi_u32 v2, 0xaaaaaaab, v31
	v_mul_lo_u16 v1, 0x55, v1
	s_clause 0x1
	s_load_b64 s[12:13], s[0:1], 0x0
	s_load_b64 s[14:15], s[0:1], 0x38
	s_delay_alu instid0(VALU_DEP_1) | instskip(NEXT) | instid1(VALU_DEP_3)
	v_sub_nc_u16 v0, v0, v1
	v_lshrrev_b32_e32 v2, 1, v2
	s_delay_alu instid0(VALU_DEP_2) | instskip(SKIP_1) | instid1(VALU_DEP_3)
	v_and_b32_e32 v51, 0xffff, v0
	v_cmp_gt_u16_e32 vcc_lo, 0x50, v0
	v_lshl_add_u32 v2, v2, 1, v2
	s_delay_alu instid0(VALU_DEP_3) | instskip(SKIP_1) | instid1(VALU_DEP_3)
	v_lshlrev_b32_e32 v49, 2, v51
	v_or_b32_e32 v203, 0x280, v51
	v_sub_nc_u32_e32 v1, v31, v2
	v_or_b32_e32 v202, 0x500, v51
	s_delay_alu instid0(VALU_DEP_2) | instskip(NEXT) | instid1(VALU_DEP_1)
	v_mul_u32_u24_e32 v30, 0x550, v1
	v_lshlrev_b32_e32 v204, 2, v30
	s_and_saveexec_b32 s3, vcc_lo
	s_cbranch_execz .LBB0_3
; %bb.2:
	s_load_b64 s[4:5], s[0:1], 0x18
	s_wait_kmcnt 0x0
	s_load_b128 s[8:11], s[4:5], 0x0
	s_clause 0x7
	global_load_b32 v13, v49, s[12:13]
	global_load_b32 v14, v49, s[12:13] offset:320
	global_load_b32 v15, v49, s[12:13] offset:640
	;; [unrolled: 1-line block ×7, first 2 shown]
	s_wait_kmcnt 0x0
	v_mad_co_u64_u32 v[0:1], null, s10, v31, 0
	v_mad_co_u64_u32 v[2:3], null, s8, v51, 0
	v_mad_co_u64_u32 v[6:7], null, s8, v202, 0
	v_mad_co_u64_u32 v[4:5], null, s8, v203, 0
	s_mul_u64 s[4:5], s[8:9], 0x140
	s_delay_alu instid0(VALU_DEP_3) | instskip(NEXT) | instid1(VALU_DEP_3)
	v_mad_co_u64_u32 v[8:9], null, s11, v31, v[1:2]
	v_mov_b32_e32 v1, v7
	s_delay_alu instid0(VALU_DEP_3) | instskip(NEXT) | instid1(VALU_DEP_4)
	v_mad_co_u64_u32 v[9:10], null, s9, v51, v[3:4]
	v_mad_co_u64_u32 v[10:11], null, s9, v203, v[5:6]
	s_delay_alu instid0(VALU_DEP_3)
	v_mad_co_u64_u32 v[11:12], null, s9, v202, v[1:2]
	v_mov_b32_e32 v1, v8
	s_clause 0x8
	global_load_b32 v12, v49, s[12:13] offset:2560
	global_load_b32 v21, v49, s[12:13] offset:2880
	global_load_b32 v22, v49, s[12:13] offset:3200
	global_load_b32 v23, v49, s[12:13] offset:3520
	global_load_b32 v24, v49, s[12:13] offset:3840
	global_load_b32 v25, v49, s[12:13] offset:4160
	global_load_b32 v26, v49, s[12:13] offset:4480
	global_load_b32 v27, v49, s[12:13] offset:4800
	global_load_b32 v28, v49, s[12:13] offset:5120
	v_mov_b32_e32 v3, v9
	v_mov_b32_e32 v5, v10
	v_lshlrev_b64_e32 v[0:1], 2, v[0:1]
	v_mov_b32_e32 v7, v11
	s_delay_alu instid0(VALU_DEP_4) | instskip(NEXT) | instid1(VALU_DEP_4)
	v_lshlrev_b64_e32 v[2:3], 2, v[2:3]
	v_lshlrev_b64_e32 v[4:5], 2, v[4:5]
	s_delay_alu instid0(VALU_DEP_4) | instskip(NEXT) | instid1(VALU_DEP_1)
	v_add_co_u32 v8, s2, s6, v0
	v_add_co_ci_u32_e64 v9, s2, s7, v1, s2
	v_lshlrev_b64_e32 v[0:1], 2, v[6:7]
	s_delay_alu instid0(VALU_DEP_3) | instskip(SKIP_1) | instid1(VALU_DEP_3)
	v_add_co_u32 v2, s2, v8, v2
	s_wait_alu 0xf1ff
	v_add_co_ci_u32_e64 v3, s2, v9, v3, s2
	v_add_co_u32 v4, s2, v8, v4
	s_wait_alu 0xf1ff
	v_add_co_ci_u32_e64 v5, s2, v9, v5, s2
	v_add_co_u32 v0, s2, v8, v0
	s_wait_alu 0xf1ff
	v_add_co_ci_u32_e64 v1, s2, v9, v1, s2
	s_clause 0x2
	global_load_b32 v10, v[2:3], off
	global_load_b32 v11, v[4:5], off
	;; [unrolled: 1-line block ×3, first 2 shown]
	s_wait_alu 0xfffe
	v_add_co_u32 v2, s2, v2, s4
	s_wait_alu 0xf1ff
	v_add_co_ci_u32_e64 v3, s2, s5, v3, s2
	s_delay_alu instid0(VALU_DEP_2) | instskip(SKIP_1) | instid1(VALU_DEP_2)
	v_add_co_u32 v4, s2, v2, s4
	s_wait_alu 0xf1ff
	v_add_co_ci_u32_e64 v5, s2, s5, v3, s2
	global_load_b32 v32, v[2:3], off
	v_add_co_u32 v0, s2, v4, s4
	global_load_b32 v33, v[4:5], off
	s_wait_alu 0xf1ff
	v_add_co_ci_u32_e64 v1, s2, s5, v5, s2
	global_load_b32 v34, v[0:1], off
	v_add_co_u32 v2, s2, v0, s4
	s_wait_alu 0xf1ff
	v_add_co_ci_u32_e64 v3, s2, s5, v1, s2
	s_delay_alu instid0(VALU_DEP_2) | instskip(SKIP_1) | instid1(VALU_DEP_2)
	v_add_co_u32 v6, s2, v2, s4
	s_wait_alu 0xf1ff
	v_add_co_ci_u32_e64 v7, s2, s5, v3, s2
	global_load_b32 v35, v[2:3], off
	v_add_co_u32 v4, s2, v6, s4
	s_wait_alu 0xf1ff
	v_add_co_ci_u32_e64 v5, s2, s5, v7, s2
	s_delay_alu instid0(VALU_DEP_2) | instskip(SKIP_1) | instid1(VALU_DEP_2)
	v_add_co_u32 v0, s2, v4, s4
	s_wait_alu 0xf1ff
	v_add_co_ci_u32_e64 v1, s2, s5, v5, s2
	global_load_b32 v6, v[6:7], off
	global_load_b32 v4, v[4:5], off
	v_mad_co_u64_u32 v[8:9], null, 0x280, s8, v[0:1]
	global_load_b32 v5, v[0:1], off
	v_mov_b32_e32 v2, v9
	v_add_co_u32 v0, s2, v8, s4
	s_delay_alu instid0(VALU_DEP_2) | instskip(NEXT) | instid1(VALU_DEP_1)
	v_mad_co_u64_u32 v[2:3], null, 0x280, s9, v[2:3]
	v_mov_b32_e32 v9, v2
	s_wait_alu 0xf1ff
	s_delay_alu instid0(VALU_DEP_1)
	v_add_co_ci_u32_e64 v1, s2, s5, v9, s2
	v_add_co_u32 v2, s2, v0, s4
	global_load_b32 v7, v[8:9], off
	s_wait_alu 0xf1ff
	v_add_co_ci_u32_e64 v3, s2, s5, v1, s2
	global_load_b32 v8, v[0:1], off
	v_add_co_u32 v0, s2, v2, s4
	s_wait_alu 0xf1ff
	v_add_co_ci_u32_e64 v1, s2, s5, v3, s2
	global_load_b32 v9, v[2:3], off
	v_add_co_u32 v2, s2, v0, s4
	;; [unrolled: 4-line block ×4, first 2 shown]
	s_wait_alu 0xf1ff
	v_add_co_ci_u32_e64 v3, s2, s5, v1, s2
	global_load_b32 v0, v[0:1], off
	global_load_b32 v1, v[2:3], off
	v_lshl_add_u32 v3, v51, 2, v204
	v_add_nc_u32_e32 v2, v204, v49
	s_delay_alu instid0(VALU_DEP_1)
	v_add_nc_u32_e32 v38, 0x200, v2
	v_add_nc_u32_e32 v39, 0x400, v2
	;; [unrolled: 1-line block ×6, first 2 shown]
	s_wait_loadcnt 0x21
	v_lshrrev_b32_e32 v44, 16, v13
	s_wait_loadcnt 0x20
	v_lshrrev_b32_e32 v45, 16, v14
	;; [unrolled: 2-line block ×18, first 2 shown]
	v_mul_f16_e32 v67, v44, v10
	s_wait_loadcnt 0xf
	v_lshrrev_b32_e32 v68, 16, v11
	s_wait_loadcnt 0xe
	v_lshrrev_b32_e32 v70, 16, v29
	v_mul_f16_e32 v69, v57, v11
	v_mul_f16_e32 v44, v44, v66
	v_fma_f16 v66, v13, v66, -v67
	v_mul_f16_e32 v71, v65, v29
	v_mul_f16_e32 v57, v57, v68
	;; [unrolled: 1-line block ×3, first 2 shown]
	v_fmac_f16_e32 v44, v13, v10
	v_fma_f16 v68, v12, v68, -v69
	v_fma_f16 v69, v28, v70, -v71
	s_wait_loadcnt 0xd
	v_lshrrev_b32_e32 v67, 16, v32
	v_mul_f16_e32 v72, v45, v32
	v_fmac_f16_e32 v57, v12, v11
	v_fmac_f16_e32 v65, v28, v29
	v_pack_b32_f16 v11, v44, v66
	v_mul_f16_e32 v10, v45, v67
	v_fma_f16 v13, v14, v67, -v72
	s_wait_loadcnt 0xc
	v_lshrrev_b32_e32 v45, 16, v33
	v_mul_f16_e32 v67, v46, v33
	s_wait_loadcnt 0xb
	v_lshrrev_b32_e32 v28, 16, v34
	v_fmac_f16_e32 v10, v14, v32
	v_mul_f16_e32 v29, v47, v34
	v_mul_f16_e32 v12, v46, v45
	ds_store_b32 v3, v11
	v_fma_f16 v14, v15, v45, -v67
	v_pack_b32_f16 v3, v10, v13
	v_mul_f16_e32 v10, v47, v28
	v_fmac_f16_e32 v12, v15, v33
	v_fma_f16 v15, v16, v28, -v29
	s_wait_loadcnt 0xa
	v_lshrrev_b32_e32 v11, 16, v35
	v_mul_f16_e32 v13, v53, v35
	v_fmac_f16_e32 v10, v16, v34
	v_pack_b32_f16 v12, v12, v14
	v_pack_b32_f16 v32, v57, v68
	v_mul_f16_e32 v14, v53, v11
	v_fma_f16 v11, v17, v11, -v13
	v_pack_b32_f16 v10, v10, v15
	ds_store_2addr_b32 v2, v3, v12 offset0:80 offset1:160
	v_add_nc_u32_e32 v2, 0x1200, v2
	s_wait_loadcnt 0x9
	v_lshrrev_b32_e32 v13, 16, v6
	v_mul_f16_e32 v16, v54, v6
	s_wait_loadcnt 0x8
	v_lshrrev_b32_e32 v15, 16, v4
	v_fmac_f16_e32 v14, v17, v35
	v_mul_f16_e32 v28, v55, v4
	v_mul_f16_e32 v17, v54, v13
	v_fma_f16 v13, v18, v13, -v16
	v_mul_f16_e32 v16, v55, v15
	s_wait_loadcnt 0x7
	v_lshrrev_b32_e32 v29, 16, v5
	v_pack_b32_f16 v11, v14, v11
	v_fmac_f16_e32 v17, v18, v6
	v_fma_f16 v6, v19, v15, -v28
	v_mul_f16_e32 v15, v56, v5
	v_fmac_f16_e32 v16, v19, v4
	v_mul_f16_e32 v4, v56, v29
	v_pack_b32_f16 v13, v17, v13
	v_pack_b32_f16 v44, v65, v69
	v_fma_f16 v14, v20, v29, -v15
	v_pack_b32_f16 v6, v16, v6
	v_fmac_f16_e32 v4, v20, v5
	ds_store_2addr_b32 v38, v10, v11 offset0:112 offset1:192
	ds_store_2addr_b32 v39, v13, v6 offset0:144 offset1:224
	v_pack_b32_f16 v4, v4, v14
	ds_store_2addr_b32 v40, v4, v32 offset0:48 offset1:128
	s_wait_loadcnt 0x6
	v_lshrrev_b32_e32 v3, 16, v7
	v_mul_f16_e32 v5, v58, v7
	s_wait_loadcnt 0x5
	v_lshrrev_b32_e32 v10, 16, v8
	v_mul_f16_e32 v11, v59, v8
	v_mul_f16_e32 v6, v58, v3
	v_fma_f16 v3, v21, v3, -v5
	s_delay_alu instid0(VALU_DEP_4) | instskip(NEXT) | instid1(VALU_DEP_4)
	v_mul_f16_e32 v4, v59, v10
	v_fma_f16 v5, v22, v10, -v11
	s_delay_alu instid0(VALU_DEP_4)
	v_fmac_f16_e32 v6, v21, v7
	s_wait_loadcnt 0x4
	v_lshrrev_b32_e32 v7, 16, v9
	v_mul_f16_e32 v10, v60, v9
	v_fmac_f16_e32 v4, v22, v8
	v_pack_b32_f16 v3, v6, v3
	s_wait_loadcnt 0x3
	v_lshrrev_b32_e32 v6, 16, v36
	v_mul_f16_e32 v8, v60, v7
	v_fma_f16 v7, v23, v7, -v10
	v_mul_f16_e32 v10, v61, v36
	v_pack_b32_f16 v4, v4, v5
	v_mul_f16_e32 v5, v61, v6
	v_fmac_f16_e32 v8, v23, v9
	s_wait_loadcnt 0x2
	v_lshrrev_b32_e32 v9, 16, v37
	v_fma_f16 v6, v24, v6, -v10
	v_mul_f16_e32 v10, v62, v37
	s_wait_loadcnt 0x1
	v_lshrrev_b32_e32 v11, 16, v0
	s_wait_loadcnt 0x0
	v_lshrrev_b32_e32 v13, 16, v1
	v_mul_f16_e32 v12, v62, v9
	v_mul_f16_e32 v15, v64, v1
	v_fma_f16 v9, v25, v9, -v10
	v_mul_f16_e32 v10, v63, v0
	v_mul_f16_e32 v14, v63, v11
	v_mul_f16_e32 v16, v64, v13
	v_fmac_f16_e32 v5, v24, v36
	v_fmac_f16_e32 v12, v25, v37
	v_fma_f16 v10, v26, v11, -v10
	v_fmac_f16_e32 v14, v26, v0
	v_fma_f16 v0, v27, v13, -v15
	v_fmac_f16_e32 v16, v27, v1
	v_pack_b32_f16 v1, v8, v7
	v_pack_b32_f16 v5, v5, v6
	;; [unrolled: 1-line block ×5, first 2 shown]
	ds_store_2addr_b32 v41, v3, v4 offset0:80 offset1:160
	ds_store_2addr_b32 v42, v1, v5 offset0:112 offset1:192
	;; [unrolled: 1-line block ×4, first 2 shown]
.LBB0_3:
	s_or_b32 exec_lo, exec_lo, s3
	v_mov_b32_e32 v4, 0
                                        ; kill: def $vgpr0 killed $sgpr0 killed $exec
	global_wb scope:SCOPE_SE
	s_wait_dscnt 0x0
	s_wait_kmcnt 0x0
	s_barrier_signal -1
	s_barrier_wait -1
	global_inv scope:SCOPE_SE
                                        ; implicit-def: $vgpr16
                                        ; implicit-def: $vgpr1
                                        ; implicit-def: $vgpr3
                                        ; implicit-def: $vgpr7
                                        ; implicit-def: $vgpr9
                                        ; implicit-def: $vgpr11
                                        ; implicit-def: $vgpr15
                                        ; implicit-def: $vgpr13
                                        ; implicit-def: $vgpr53
	s_and_saveexec_b32 s2, vcc_lo
	s_cbranch_execz .LBB0_5
; %bb.4:
	v_lshl_add_u32 v16, v30, 2, v49
	ds_load_2addr_b32 v[4:5], v16 offset1:80
	ds_load_2addr_b32 v[12:13], v16 offset0:160 offset1:240
	v_add_nc_u32_e32 v0, 0x400, v16
	v_add_nc_u32_e32 v1, 0x600, v16
	;; [unrolled: 1-line block ×6, first 2 shown]
	ds_load_2addr_b32 v[14:15], v0 offset0:64 offset1:144
	ds_load_2addr_b32 v[10:11], v1 offset0:96 offset1:176
	;; [unrolled: 1-line block ×6, first 2 shown]
	ds_load_b32 v16, v16 offset:5120
	s_wait_dscnt 0x7
	v_alignbit_b32 v53, v12, v12, 16
.LBB0_5:
	s_wait_alu 0xfffe
	s_or_b32 exec_lo, exec_lo, s2
	s_wait_dscnt 0x0
	v_pk_add_f16 v12, v5, v16 neg_lo:[0,1] neg_hi:[0,1]
	v_pk_add_f16 v19, v53, v1 op_sel:[1,0] op_sel_hi:[0,1] neg_lo:[0,1] neg_hi:[0,1]
	v_pk_add_f16 v21, v16, v5
	v_pk_add_f16 v17, v1, v53 op_sel:[1,0] op_sel_hi:[0,1]
	v_pk_add_f16 v18, v13, v0 neg_lo:[0,1] neg_hi:[0,1]
	v_lshrrev_b32_e32 v109, 16, v12
	v_lshrrev_b32_e32 v110, 16, v19
	;; [unrolled: 1-line block ×4, first 2 shown]
	v_mul_f16_e32 v61, 0xb964, v12
	v_mul_f16_e32 v39, 0xb5c8, v109
	;; [unrolled: 1-line block ×3, first 2 shown]
	v_pk_mul_f16 v22, 0x3b7639e9, v21
	v_lshrrev_b32_e32 v111, 16, v18
	v_lshrrev_b32_e32 v47, 16, v4
	v_fmamk_f16 v20, v21, 0x3b76, v39
	v_fmamk_f16 v25, v70, 0x39e9, v38
	v_pk_mul_f16 v23, 0xbbf7b964, v19
	v_fma_f16 v24, v73, 0x39e9, -v61
	v_pk_fma_f16 v36, 0xb964b5c8, v12, v22 op_sel:[0,0,1] op_sel_hi:[1,1,0] neg_lo:[0,1,0] neg_hi:[0,1,0]
	v_add_f16_e32 v20, v20, v4
	v_pk_fma_f16 v37, 0xb964b5c8, v12, v22 op_sel:[0,0,1] op_sel_hi:[1,1,0]
	v_mul_f16_e32 v65, 0xbbf7, v19
	v_pk_add_f16 v22, v0, v13
	v_mul_f16_e32 v44, 0xbb29, v111
	v_add_f16_e32 v25, v25, v20
	v_pk_add_f16 v20, v14, v3 neg_lo:[0,1] neg_hi:[0,1]
	v_add_f16_e32 v24, v24, v47
	v_pk_fma_f16 v40, 0x2de839e9, v17, v23 neg_lo:[0,0,1] neg_hi:[0,0,1]
	v_pk_fma_f16 v41, 0x2de839e9, v17, v23
	v_fma_f16 v26, v17, 0x2de8, -v65
	v_lshrrev_b32_e32 v112, 16, v20
	v_fmamk_f16 v27, v22, 0x3722, v44
	v_lshrrev_b32_e32 v76, 16, v22
	v_mul_f16_e32 v58, 0xba62, v18
	v_pk_add_f16 v23, v3, v14
	v_mul_f16_e32 v45, 0xbbf7, v112
	v_pk_mul_f16 v28, 0x3722b8d2, v22
	v_add_f16_e32 v26, v26, v24
	v_add_f16_e32 v25, v27, v25
	v_fma_f16 v27, v76, 0xb8d2, -v58
	v_fmamk_f16 v29, v23, 0x2de8, v45
	v_pk_add_f16 v24, v15, v2 neg_lo:[0,1] neg_hi:[0,1]
	v_pk_fma_f16 v42, 0xba62bb29, v18, v28 op_sel:[0,0,1] op_sel_hi:[1,1,0] neg_lo:[0,1,0] neg_hi:[0,1,0]
	v_pk_fma_f16 v46, 0xba62bb29, v18, v28 op_sel:[0,0,1] op_sel_hi:[1,1,0]
	v_add_f16_e32 v28, v27, v26
	v_add_f16_e32 v29, v29, v25
	v_pk_mul_f16 v27, 0x2de8bbdd, v23
	v_lshrrev_b32_e32 v113, 16, v24
	v_pk_add_f16 v26, v2, v15
	v_pk_add_f16 v25, v10, v7 neg_lo:[0,1] neg_hi:[0,1]
	v_lshrrev_b32_e32 v80, 16, v23
	v_mul_f16_e32 v64, 0xb1e1, v20
	v_mul_f16_e32 v59, 0xbbb2, v113
	v_pk_fma_f16 v56, 0xb1e1bbf7, v20, v27 op_sel:[0,0,1] op_sel_hi:[1,1,0] neg_lo:[0,1,0] neg_hi:[0,1,0]
	v_pk_fma_f16 v57, 0xb1e1bbf7, v20, v27 op_sel:[0,0,1] op_sel_hi:[1,1,0]
	v_lshrrev_b32_e32 v115, 16, v25
	v_pk_add_f16 v27, v7, v10
	v_pk_mul_f16 v34, 0xb461bacd, v26
	v_fma_f16 v32, v80, 0xbbdd, -v64
	v_fmamk_f16 v33, v26, 0xb461, v59
	v_lshrrev_b32_e32 v83, 16, v26
	v_mul_f16_e32 v69, 0x3836, v24
	v_mul_f16_e32 v60, 0xba62, v115
	v_pk_fma_f16 v62, 0x3836bbb2, v24, v34 op_sel:[0,0,1] op_sel_hi:[1,1,0] neg_lo:[0,1,0] neg_hi:[0,1,0]
	v_pk_fma_f16 v63, 0x3836bbb2, v24, v34 op_sel:[0,0,1] op_sel_hi:[1,1,0]
	v_pk_mul_f16 v34, 0xb8d2b461, v27
	v_add_f16_e32 v32, v32, v28
	v_add_f16_e32 v29, v33, v29
	v_fma_f16 v33, v83, 0xbacd, -v69
	v_fmamk_f16 v35, v27, 0xb8d2, v60
	v_pk_add_f16 v28, v11, v6 neg_lo:[0,1] neg_hi:[0,1]
	v_lshrrev_b32_e32 v85, 16, v27
	v_mul_f16_e32 v71, 0x3bb2, v25
	v_pk_fma_f16 v66, 0x3bb2ba62, v25, v34 op_sel:[0,0,1] op_sel_hi:[1,1,0] neg_lo:[0,1,0] neg_hi:[0,1,0]
	v_pk_fma_f16 v68, 0x3bb2ba62, v25, v34 op_sel:[0,0,1] op_sel_hi:[1,1,0]
	v_lshrrev_b32_e32 v34, 16, v37
	v_add_f16_e32 v32, v33, v32
	v_add_f16_e32 v33, v35, v29
	v_lshrrev_b32_e32 v114, 16, v28
	v_fma_f16 v35, v85, 0xb461, -v71
	v_add_f16_e32 v55, v36, v47
	v_add_f16_e32 v34, v34, v4
	v_lshrrev_b32_e32 v74, 16, v41
	v_pk_add_f16 v29, v6, v11
	v_mul_f16_e32 v67, 0xb836, v114
	v_add_f16_e32 v32, v35, v32
	v_add_f16_e32 v35, v40, v55
	;; [unrolled: 1-line block ×3, first 2 shown]
	v_lshrrev_b32_e32 v55, 16, v46
	v_fmamk_f16 v43, v29, 0xbacd, v67
	v_pk_mul_f16 v54, 0xbacd3722, v29
	v_lshrrev_b32_e32 v87, 16, v29
	v_mul_f16_e32 v79, 0x3b29, v28
	v_add_f16_e32 v35, v42, v35
	v_add_f16_e32 v34, v55, v34
	v_lshrrev_b32_e32 v55, 16, v57
	v_add_f16_e32 v33, v43, v33
	v_pk_fma_f16 v72, 0x3b29b836, v28, v54 op_sel:[0,0,1] op_sel_hi:[1,1,0] neg_lo:[0,1,0] neg_hi:[0,1,0]
	v_pk_add_f16 v43, v8, v9 neg_lo:[0,1] neg_hi:[0,1]
	v_pk_fma_f16 v74, 0x3b29b836, v28, v54 op_sel:[0,0,1] op_sel_hi:[1,1,0]
	v_fma_f16 v54, v87, 0x3722, -v79
	v_add_f16_e32 v35, v56, v35
	v_add_f16_e32 v34, v55, v34
	v_lshrrev_b32_e32 v77, 16, v63
	v_pk_add_f16 v55, v9, v8
	s_clause 0x1
	s_load_b64 s[4:5], s[0:1], 0x20
	s_load_b64 s[2:3], s[0:1], 0x8
	v_lshrrev_b32_e32 v124, 16, v43
	v_add_f16_e32 v54, v54, v32
	v_add_f16_e32 v32, v62, v35
	v_add_f16_e32 v34, v77, v34
	v_lshrrev_b32_e32 v35, 16, v68
	v_pk_mul_f16 v78, 0xbbdd3b76, v55
	v_mul_f16_e32 v75, 0xb1e1, v124
	v_add_f16_e32 v32, v66, v32
	v_lshrrev_b32_e32 v88, 16, v55
	v_add_f16_e32 v34, v35, v34
	v_lshrrev_b32_e32 v35, 16, v74
	v_pk_fma_f16 v77, 0x35c8b1e1, v43, v78 op_sel:[0,0,1] op_sel_hi:[1,1,0]
	v_mul_f16_e32 v81, 0x35c8, v43
	v_fmamk_f16 v82, v55, 0xbbdd, v75
	v_pk_fma_f16 v78, 0x35c8b1e1, v43, v78 op_sel:[0,0,1] op_sel_hi:[1,1,0] neg_lo:[0,1,0] neg_hi:[0,1,0]
	v_add_f16_e32 v32, v72, v32
	v_add_f16_e32 v34, v35, v34
	v_lshrrev_b32_e32 v84, 16, v77
	v_fma_f16 v86, v88, 0x3b76, -v81
	v_add_f16_e32 v33, v82, v33
	v_add_f16_e32 v35, v78, v32
	v_mul_lo_u16 v48, v51, 17
	v_add_f16_e32 v32, v84, v34
	v_add_f16_e32 v34, v86, v54
	global_wb scope:SCOPE_SE
	s_wait_kmcnt 0x0
	s_barrier_signal -1
	s_barrier_wait -1
	global_inv scope:SCOPE_SE
	s_and_saveexec_b32 s0, vcc_lo
	s_cbranch_execz .LBB0_7
; %bb.6:
	v_mul_f16_e32 v107, 0x3722, v73
	v_mul_f16_e32 v106, 0xb8d2, v17
	;; [unrolled: 1-line block ×5, first 2 shown]
	v_fmamk_f16 v82, v12, 0x3b29, v107
	v_fmamk_f16 v84, v19, 0x3a62, v106
	;; [unrolled: 1-line block ×3, first 2 shown]
	v_mul_f16_e32 v99, 0x39e9, v83
	v_mul_f16_e32 v103, 0xba62, v110
	v_add_f16_e32 v82, v82, v47
	v_fmamk_f16 v91, v21, 0x3722, v102
	v_mul_f16_e32 v97, 0x3b76, v85
	v_mul_f16_e32 v100, 0x31e1, v111
	v_fmamk_f16 v94, v70, 0xb8d2, v103
	v_add_f16_e32 v82, v84, v82
	v_fmamk_f16 v84, v20, 0xbbb2, v101
	v_add_f16_e32 v91, v91, v4
	v_mul_f16_e32 v90, 0x2de8, v87
	v_mul_f16_e32 v98, 0x3bb2, v112
	v_add_f16_e32 v82, v86, v82
	v_fmamk_f16 v86, v24, 0xb964, v99
	v_mul_f16_e32 v122, 0x2de8, v73
	v_fmamk_f16 v95, v22, 0xbbdd, v100
	v_add_f16_e32 v91, v94, v91
	v_add_f16_e32 v82, v84, v82
	v_fmamk_f16 v84, v25, 0x35c8, v97
	v_mul_f16_e32 v92, 0x3964, v113
	v_mul_f16_e32 v116, 0xbbdd, v17
	v_fmamk_f16 v94, v23, 0xb461, v98
	v_add_f16_e32 v82, v86, v82
	v_fmamk_f16 v86, v28, 0x3bf7, v90
	v_add_f16_e32 v91, v95, v91
	v_mul_f16_e32 v93, 0xb5c8, v115
	v_fmamk_f16 v96, v26, 0x39e9, v92
	v_add_f16_e32 v82, v84, v82
	v_fmamk_f16 v84, v12, 0x3bf7, v122
	v_add_f16_e32 v91, v94, v91
	v_mul_f16_e32 v117, 0xb461, v76
	v_mul_f16_e32 v89, 0xbacd, v88
	v_add_f16_e32 v82, v86, v82
	v_add_f16_e32 v84, v84, v47
	v_fmamk_f16 v86, v19, 0x31e1, v116
	v_add_f16_e32 v91, v96, v91
	v_fmamk_f16 v94, v27, 0x3b76, v93
	v_mul_f16_e32 v96, 0xbbf7, v114
	v_mul_f16_e32 v118, 0x3b76, v80
	v_add_f16_e32 v84, v86, v84
	v_fmamk_f16 v86, v18, 0xbbb2, v117
	v_fmamk_f16 v95, v43, 0x3836, v89
	v_add_f16_e32 v91, v94, v91
	v_fmamk_f16 v104, v29, 0x2de8, v96
	v_mul_f16_e32 v94, 0xb836, v124
	v_add_f16_e32 v84, v86, v84
	v_fmamk_f16 v86, v20, 0xb5c8, v118
	v_mul_f16_e32 v119, 0x3722, v83
	v_add_f16_e32 v82, v95, v82
	v_add_f16_e32 v91, v104, v91
	v_fmamk_f16 v95, v55, 0xbacd, v94
	v_mul_f16_e32 v125, 0xbbf7, v109
	v_add_f16_e32 v86, v86, v84
	v_fmamk_f16 v104, v24, 0x3b29, v119
	v_mul_f16_e32 v123, 0xbacd, v85
	;; [unrolled: 3-line block ×6, first 2 shown]
	v_add_f16_e32 v91, v104, v91
	v_fmamk_f16 v104, v22, 0xb461, v127
	v_mul_f16_e64 v128, 0x35c8, v112
	v_add_f16_e32 v86, v95, v86
	v_fmamk_f16 v95, v43, 0xb964, v120
	v_mul_f16_e64 v129, 0xb461, v73
	v_add_f16_e32 v91, v104, v91
	v_fma_f16 v104, 0x3b76, v23, v128
	v_mul_f16_e64 v130, 0xbb29, v113
	v_add_f16_e32 v86, v95, v86
	v_fma_f16 v95, 0x3bb2, v12, v129
	;; [unrolled: 3-line block ×14, first 2 shown]
	v_mul_f16_e64 v144, 0xb8d2, v88
	v_add_f16_e64 v104, v142, v104
	v_fma_f16 v142, 0x39e9, v22, v143
	v_mul_f16_e64 v145, 0xbb29, v112
	v_add_f16_e32 v95, v108, v95
	v_fma_f16 v108, 0x3a62, v43, v144
	v_mul_f16_e64 v146, 0xb8d2, v73
	v_add_f16_e64 v104, v142, v104
	v_fma_f16 v142, 0x3722, v23, v145
	v_mul_f16_e64 v147, 0xb1e1, v113
	v_add_f16_e32 v95, v108, v95
	v_fma_f16 v108, 0x3a62, v12, v146
	;; [unrolled: 6-line block ×3, first 2 shown]
	v_mul_f16_e64 v151, 0x3b76, v76
	v_add_f16_e64 v104, v142, v104
	v_fma_f16 v142, 0x2de8, v27, v149
	v_mul_f16_e64 v152, 0xb5c8, v114
	v_add_f16_e64 v108, v150, v108
	v_fma_f16 v150, 0x35c8, v18, v151
	;; [unrolled: 3-line block ×22, first 2 shown]
	v_mul_f16_e64 v174, 0xb836, v109
	v_add_f16_e64 v109, v160, v142
	v_mul_f16_e64 v160, 0x3b29, v110
	v_mul_f16_e64 v177, 0xb461, v88
	v_add_f16_e64 v110, v168, v150
	v_fma_f16 v150, 0x31e1, v25, v175
	v_mul_f16_e64 v168, 0x39e9, v87
	v_fmac_f16_e64 v164, 0xb836, v12
	v_fma_f16 v142, 0xbacd, v21, v174
	v_fmac_f16_e64 v166, 0x3b29, v19
	v_add_f16_e64 v110, v150, v110
	v_fma_f16 v150, 0xb964, v28, v168
	v_fma_f16 v174, v21, 0xbacd, -v174
	v_add_f16_e64 v142, v142, v4
	v_fma_f16 v176, 0x3722, v70, v160
	v_mul_f16_e32 v111, 0xbbf7, v111
	v_add_f16_e64 v110, v150, v110
	v_fma_f16 v150, 0x3bb2, v43, v177
	v_fma_f16 v160, v70, 0x3722, -v160
	v_add_f16_e64 v142, v176, v142
	v_fma_f16 v176, 0x2de8, v22, v111
	v_mul_f16_e32 v112, 0x3a62, v112
	v_add_f16_e64 v110, v150, v110
	v_add_f16_e64 v150, v164, v47
	v_fma_f16 v111, v22, 0x2de8, -v111
	v_add_f16_e64 v142, v176, v142
	v_fma_f16 v176, 0xb8d2, v23, v112
	v_mul_f16_e32 v113, 0xb5c8, v113
	v_add_f16_e64 v150, v166, v150
	v_add_f16_e64 v166, v174, v4
	v_fma_f16 v112, v23, 0xb8d2, -v112
	v_add_f16_e64 v142, v176, v142
	v_fma_f16 v164, 0x3b76, v26, v113
	v_mul_f16_e32 v115, 0xb1e1, v115
	v_add_f16_e64 v160, v160, v166
	v_mul_f16_e32 v114, 0x3964, v114
	v_mul_f16_e32 v124, 0xbbb2, v124
	v_add_f16_e64 v142, v164, v142
	v_fma_f16 v164, 0xbbdd, v27, v115
	v_add_f16_e64 v111, v111, v160
	v_fmac_f16_e64 v129, 0xbbb2, v12
	v_fma_f16 v160, 0xb461, v55, v124
	v_fmac_f16_e32 v122, 0xbbf7, v12
	v_add_f16_e64 v142, v164, v142
	v_add_f16_e32 v111, v112, v111
	v_fma_f16 v112, v26, 0x3b76, -v113
	v_fma_f16 v164, 0x39e9, v29, v114
	v_add_f16_e32 v122, v122, v47
	v_fmac_f16_e32 v116, 0xb1e1, v19
	v_fma_f16 v125, v21, 0x2de8, -v125
	v_add_f16_e32 v111, v112, v111
	v_fma_f16 v112, v27, 0xbbdd, -v115
	v_fmac_f16_e32 v117, 0x3bb2, v18
	v_add_f16_e32 v116, v116, v122
	v_fma_f16 v122, v26, 0xbbdd, -v147
	v_add_f16_e32 v125, v125, v4
	v_add_f16_e32 v111, v112, v111
	v_fma_f16 v112, v29, 0x39e9, -v114
	v_fma_f16 v114, v21, 0xb8d2, -v156
	;; [unrolled: 1-line block ×3, first 2 shown]
	v_add_f16_e32 v116, v117, v116
	v_fmac_f16_e32 v118, 0x35c8, v20
	v_add_f16_e32 v111, v112, v111
	v_fma_f16 v112, v55, 0xb461, -v124
	v_add_f16_e32 v114, v114, v4
	v_fma_f16 v124, v70, 0xb461, -v158
	v_fma_f16 v117, v27, 0x2de8, -v149
	v_add_f16_e32 v116, v118, v116
	v_add_f16_e32 v111, v112, v111
	v_fmac_f16_e32 v119, 0xbb29, v24
	v_add_f16_e32 v112, v124, v114
	v_fma_f16 v114, v22, 0x3b76, -v161
	v_add_f16_e64 v124, v129, v47
	v_fma_f16 v129, v21, 0xb461, -v138
	v_add_f16_e32 v116, v119, v116
	v_fmac_f16_e32 v123, 0xb836, v25
	v_add_f16_e32 v112, v114, v112
	v_fma_f16 v114, v23, 0xbacd, -v163
	v_fmac_f16_e32 v121, 0x3a62, v28
	v_fmac_f16_e32 v107, 0xbb29, v12
	v_add_f16_e32 v116, v123, v116
	v_fmac_f16_e32 v106, 0xba62, v19
	v_add_f16_e32 v112, v114, v112
	v_fma_f16 v114, v26, 0x2de8, -v165
	v_add_f16_e32 v107, v107, v47
	v_add_f16_e32 v116, v121, v116
	v_fmac_f16_e32 v120, 0x3964, v43
	v_alignbit_b32 v53, v53, v53, 16
	v_add_f16_e32 v112, v114, v112
	v_fma_f16 v114, v27, 0x39e9, -v167
	v_add_f16_e32 v106, v106, v107
	v_add_f16_e32 v107, v120, v116
	v_fmac_f16_e32 v105, 0x31e1, v18
	v_fmac_f16_e32 v101, 0x3bb2, v20
	v_add_f16_e32 v112, v114, v112
	v_fma_f16 v114, v29, 0xbbdd, -v170
	v_mul_f16_e32 v73, 0x39e9, v73
	v_add_f16_e32 v105, v105, v106
	v_fmac_f16_e64 v146, 0xba62, v12
	v_mul_f16_e32 v106, 0x3b76, v21
	v_add_f16_e32 v112, v114, v112
	v_add_f16_e64 v114, v129, v4
	v_fma_f16 v129, v70, 0xbacd, -v140
	v_add_f16_e32 v101, v101, v105
	v_mul_f16_e32 v105, 0x2de8, v17
	v_add_f16_e32 v61, v61, v73
	v_add_f16_e64 v115, v146, v47
	v_add_f16_e64 v114, v129, v114
	v_fma_f16 v129, v22, 0x39e9, -v143
	v_mul_f16_e32 v76, 0xb8d2, v76
	v_add_f16_e32 v47, v61, v47
	v_add_f16_e32 v61, v65, v105
	v_fma_f16 v102, v21, 0x3722, -v102
	v_add_f16_e64 v114, v129, v114
	v_fma_f16 v129, v23, 0x3722, -v145
	v_mul_f16_e32 v80, 0xbbdd, v80
	v_add_f16_e32 v47, v61, v47
	v_fmac_f16_e32 v99, 0x3964, v24
	v_add_f16_e32 v102, v102, v4
	v_add_f16_e64 v114, v129, v114
	v_mul_f16_e32 v83, 0xbacd, v83
	v_mul_f16_e32 v85, 0xb461, v85
	v_add_f16_e32 v99, v99, v101
	v_mul_f16_e32 v101, 0x2de8, v23
	v_add_f16_e32 v114, v122, v114
	v_add_f16_e32 v122, v126, v125
	v_fma_f16 v125, v22, 0xb461, -v127
	v_fmac_f16_e32 v97, 0xb5c8, v25
	v_mul_f16_e32 v87, 0x3722, v87
	v_add_f16_e32 v114, v117, v114
	v_fma_f16 v117, v29, 0x3b76, -v152
	v_add_f16_e32 v118, v125, v122
	v_fma_f16 v122, v23, 0x3b76, -v128
	v_fma_f16 v100, v22, 0xbbdd, -v100
	v_add_f16_e32 v97, v97, v99
	v_add_f16_e32 v114, v117, v114
	v_mul_f16_e32 v99, 0xb8d2, v27
	v_add_f16_e32 v117, v122, v118
	v_fma_f16 v118, v26, 0x3722, -v130
	v_mul_f16_e32 v88, 0x3b76, v88
	v_mul_f16_e32 v73, 0xbbdd, v55
	v_fmac_f16_e32 v90, 0xbbf7, v28
	v_fma_f16 v98, v23, 0xb461, -v98
	v_add_f16_e32 v117, v118, v117
	v_fma_f16 v118, v27, 0xbacd, -v132
	v_pk_mul_f16 v21, 0xbbdd, v21 op_sel_hi:[0,1]
	v_add_f16_e32 v65, v90, v97
	v_fma_f16 v90, v26, 0x39e9, -v92
	v_fma_f16 v61, v27, 0x3b76, -v93
	v_add_f16_e32 v117, v118, v117
	v_fma_f16 v118, v29, 0xb8d2, -v134
	v_fmac_f16_e64 v148, 0x3bb2, v19
	v_fmac_f16_e64 v131, 0x3836, v19
	;; [unrolled: 1-line block ×4, first 2 shown]
	v_add_f16_e32 v116, v118, v117
	v_alignbit_b32 v117, v4, v4, 16
	v_fma_f16 v118, v55, 0x39e9, -v136
	v_add_f16_e64 v115, v148, v115
	v_add_f16_e64 v124, v131, v124
	v_fmac_f16_e64 v133, 0x3964, v18
	v_pk_add_f16 v5, v5, v117 op_sel:[0,1] op_sel_hi:[1,0]
	v_add_f16_e32 v116, v118, v116
	v_mul_f16_e32 v118, 0x39e9, v70
	v_fma_f16 v70, v70, 0xb8d2, -v103
	v_mul_f16_e32 v103, 0x3722, v22
	v_pk_add_f16 v5, v53, v5
	v_add_f16_e32 v53, v58, v76
	v_add_f16_e64 v150, v169, v150
	v_add_f16_e32 v70, v70, v102
	v_mul_f16_e32 v102, 0xb461, v26
	v_pk_add_f16 v5, v13, v5
	v_add_f16_e32 v13, v53, v47
	v_add_f16_e32 v47, v64, v80
	;; [unrolled: 1-line block ×3, first 2 shown]
	v_mul_f16_e32 v100, 0xbacd, v29
	v_pk_add_f16 v5, v14, v5
	v_sub_f16_e32 v14, v106, v39
	v_add_f16_e32 v13, v47, v13
	v_add_f16_e32 v39, v69, v83
	;; [unrolled: 1-line block ×3, first 2 shown]
	v_pk_add_f16 v5, v15, v5
	v_add_f16_e32 v4, v14, v4
	v_sub_f16_e32 v14, v118, v38
	v_add_f16_e32 v13, v39, v13
	v_add_f16_e32 v15, v71, v85
	v_pk_add_f16 v5, v10, v5
	v_add_f16_e32 v58, v90, v70
	v_add_f16_e32 v4, v14, v4
	v_sub_f16_e32 v14, v103, v44
	v_add_f16_e32 v13, v15, v13
	v_pk_add_f16 v5, v11, v5
	v_add_f16_e32 v11, v79, v87
	v_add_f16_e32 v58, v61, v58
	;; [unrolled: 1-line block ×3, first 2 shown]
	v_sub_f16_e32 v14, v101, v45
	v_pk_add_f16 v5, v8, v5
	v_add_f16_e32 v8, v11, v13
	v_add_f16_e32 v11, v81, v88
	v_bfi_b32 v13, 0xffff, v41, v40
	v_add_f16_e32 v4, v14, v4
	v_pk_add_f16 v5, v9, v5
	v_sub_f16_e32 v9, v102, v59
	v_add_f16_e32 v8, v11, v8
	v_bfi_b32 v11, 0xffff, v37, v36
	v_fma_f16 v47, v29, 0x2de8, -v96
	v_pk_add_f16 v5, v6, v5
	v_add_f16_e32 v4, v9, v4
	v_sub_f16_e32 v6, v99, v60
	v_pk_add_f16 v11, v11, v117
	v_bfi_b32 v9, 0xffff, v46, v42
	v_pk_add_f16 v5, v7, v5
	v_bfi_b32 v14, 0xffff, v57, v56
	v_add_f16_e32 v4, v6, v4
	v_sub_f16_e32 v6, v100, v67
	v_fmac_f16_e64 v171, 0x3a62, v20
	v_pk_add_f16 v2, v2, v5
	v_add_f16_e32 v10, v47, v58
	v_fma_f16 v15, v55, 0xbacd, -v94
	v_add_f16_e32 v4, v6, v4
	v_sub_f16_e32 v6, v73, v75
	v_pk_add_f16 v2, v3, v2
	v_and_b32_e32 v3, 0xffff, v48
	v_bfi_b32 v7, 0xffff, v63, v62
	v_add_f16_e64 v115, v151, v115
	v_add_f16_e32 v4, v6, v4
	v_pk_add_f16 v0, v0, v2
	v_add_lshl_u32 v2, v30, v3, 2
	v_pk_add_f16 v3, v13, v11
	v_pk_fma_f16 v6, 0xb1e1, v12, v21 op_sel:[0,0,1] op_sel_hi:[0,1,0] neg_lo:[0,1,0] neg_hi:[0,1,0]
	v_pk_mul_f16 v11, 0x35c8, v19 op_sel_hi:[0,1]
	v_pk_add_f16 v0, v1, v0
	v_pk_fma_f16 v1, 0xb1e1, v12, v21 op_sel:[0,0,1] op_sel_hi:[0,1,0]
	v_pk_add_f16 v3, v9, v3
	v_pk_add_f16 v6, v6, v117
	v_pk_fma_f16 v9, 0x3b76, v17, v11 op_sel_hi:[0,1,1] neg_lo:[0,0,1] neg_hi:[0,0,1]
	v_pk_mul_f16 v12, 0xbacd, v22 op_sel_hi:[0,1]
	v_pk_add_f16 v1, v1, v117
	v_pk_fma_f16 v11, 0x3b76, v17, v11 op_sel_hi:[0,1,1]
	v_pk_add_f16 v3, v14, v3
	v_pk_add_f16 v6, v9, v6
	v_pk_fma_f16 v9, 0xb836, v18, v12 op_sel:[0,0,1] op_sel_hi:[0,1,0] neg_lo:[0,1,0] neg_hi:[0,1,0]
	v_pk_mul_f16 v13, 0x39e9, v23 op_sel_hi:[0,1]
	v_pk_add_f16 v1, v11, v1
	v_pk_fma_f16 v11, 0xb836, v18, v12 op_sel:[0,0,1] op_sel_hi:[0,1,0]
	v_fmac_f16_e64 v153, 0xb836, v20
	v_add_f16_e64 v124, v133, v124
	v_fmac_f16_e64 v135, 0xbb29, v20
	v_add_f16_e64 v150, v171, v150
	v_fmac_f16_e64 v173, 0xb5c8, v24
	v_add_f16_e32 v10, v15, v10
	v_bfi_b32 v15, 0xffff, v68, v66
	v_pk_add_f16 v3, v7, v3
	v_pk_add_f16 v6, v9, v6
	v_pk_fma_f16 v7, 0x3964, v20, v13 op_sel:[0,0,1] op_sel_hi:[0,1,0] neg_lo:[0,1,0] neg_hi:[0,1,0]
	v_pk_mul_f16 v9, 0xb8d2, v26 op_sel_hi:[0,1]
	v_pk_add_f16 v1, v11, v1
	v_pk_fma_f16 v11, 0x3964, v20, v13 op_sel:[0,0,1] op_sel_hi:[0,1,0]
	v_add_f16_e64 v115, v153, v115
	v_fmac_f16_e64 v155, 0x3bf7, v24
	v_add_f16_e64 v124, v135, v124
	v_fmac_f16_e64 v137, 0xb1e1, v24
	;; [unrolled: 2-line block ×3, first 2 shown]
	v_bfi_b32 v5, 0xffff, v74, v72
	v_pk_add_f16 v3, v15, v3
	v_pk_add_f16 v6, v7, v6
	v_pk_fma_f16 v7, 0xba62, v24, v9 op_sel:[0,0,1] op_sel_hi:[0,1,0] neg_lo:[0,1,0] neg_hi:[0,1,0]
	v_pk_mul_f16 v12, 0x3722, v27 op_sel_hi:[0,1]
	v_pk_add_f16 v1, v11, v1
	v_pk_fma_f16 v9, 0xba62, v24, v9 op_sel:[0,0,1] op_sel_hi:[0,1,0]
	v_add_f16_e64 v115, v155, v115
	v_fmac_f16_e64 v157, 0xb964, v25
	v_add_f16_e64 v124, v137, v124
	v_fmac_f16_e64 v139, 0x3bf7, v25
	;; [unrolled: 2-line block ×3, first 2 shown]
	v_pk_add_f16 v3, v5, v3
	v_pk_add_f16 v5, v7, v6
	v_pk_fma_f16 v6, 0x3b29, v25, v12 op_sel:[0,0,1] op_sel_hi:[0,1,0] neg_lo:[0,1,0] neg_hi:[0,1,0]
	v_pk_mul_f16 v7, 0xb461, v29 op_sel_hi:[0,1]
	v_pk_add_f16 v1, v9, v1
	v_pk_fma_f16 v9, 0x3b29, v25, v12 op_sel:[0,0,1] op_sel_hi:[0,1,0]
	v_add_f16_e64 v115, v157, v115
	v_fmac_f16_e64 v159, 0xb1e1, v28
	v_add_f16_e64 v124, v139, v124
	v_fmac_f16_e64 v141, 0xb5c8, v28
	;; [unrolled: 2-line block ×3, first 2 shown]
	v_pk_add_f16 v5, v6, v5
	v_pk_fma_f16 v6, 0xbbb2, v28, v7 op_sel:[0,0,1] op_sel_hi:[0,1,0] neg_lo:[0,1,0] neg_hi:[0,1,0]
	v_pk_mul_f16 v11, 0x2de8, v55 op_sel_hi:[0,1]
	v_pk_add_f16 v1, v9, v1
	v_pk_fma_f16 v7, 0xbbb2, v28, v7 op_sel:[0,0,1] op_sel_hi:[0,1,0]
	v_bfi_b32 v36, 0xffff, v77, v78
	v_fmac_f16_e32 v89, 0xb836, v43
	v_add_f16_e64 v115, v159, v115
	v_fmac_f16_e64 v162, 0x3b29, v43
	v_fma_f16 v131, v55, 0x3722, -v172
	v_add_f16_e64 v124, v141, v124
	v_fmac_f16_e64 v144, 0xba62, v43
	v_fma_f16 v122, v55, 0xb8d2, -v154
	v_add_f16_e64 v113, v177, v113
	v_pk_add_f16 v5, v6, v5
	v_pk_fma_f16 v6, 0x3bf7, v43, v11 op_sel:[0,0,1] op_sel_hi:[0,1,0] neg_lo:[0,1,0] neg_hi:[0,1,0]
	v_pk_add_f16 v1, v7, v1
	v_pk_fma_f16 v7, 0x3bf7, v43, v11 op_sel:[0,0,1] op_sel_hi:[0,1,0]
	v_add_f16_e64 v142, v164, v142
	v_pk_add_f16 v3, v36, v3
	v_add_f16_e32 v53, v89, v65
	v_add_f16_e64 v115, v162, v115
	v_add_f16_e64 v112, v131, v112
	;; [unrolled: 1-line block ×3, first 2 shown]
	v_add_f16_e32 v114, v122, v114
	v_pk_add_f16 v0, v16, v0
	v_pack_b32_f16 v9, v111, v113
	v_pk_add_f16 v5, v6, v5
	v_pk_add_f16 v1, v7, v1
	v_add_f16_e64 v142, v160, v142
	v_alignbit_b32 v8, v8, v3, 16
	v_pack_b32_f16 v3, v4, v3
	v_pack_b32_f16 v4, v116, v107
	;; [unrolled: 1-line block ×5, first 2 shown]
	ds_store_2addr_b32 v2, v0, v9 offset1:7
	v_alignbit_b32 v0, v5, v1, 16
	v_alignbit_b32 v1, v1, v5, 16
	v_pack_b32_f16 v5, v109, v108
	v_pack_b32_f16 v9, v142, v110
	;; [unrolled: 1-line block ×5, first 2 shown]
	v_perm_b32 v14, v34, v32, 0x5040100
	v_perm_b32 v15, v35, v33, 0x5040100
	ds_store_2addr_b32 v2, v3, v8 offset0:1 offset1:2
	ds_store_2addr_b32 v2, v6, v4 offset0:3 offset1:4
	;; [unrolled: 1-line block ×7, first 2 shown]
	ds_store_b32 v2, v15 offset:64
.LBB0_7:
	s_wait_alu 0xfffe
	s_or_b32 exec_lo, exec_lo, s0
	v_add_lshl_u32 v55, v30, v51, 2
	global_wb scope:SCOPE_SE
	s_wait_dscnt 0x0
	s_barrier_signal -1
	s_barrier_wait -1
	global_inv scope:SCOPE_SE
	v_add_nc_u32_e32 v0, 0x200, v55
	v_add_nc_u32_e32 v1, 0x800, v55
	;; [unrolled: 1-line block ×5, first 2 shown]
	ds_load_2addr_b32 v[18:19], v0 offset0:42 offset1:144
	v_add_nc_u32_e32 v0, 0x400, v55
	ds_load_2addr_b32 v[16:17], v55 offset1:85
	ds_load_2addr_b32 v[28:29], v1 offset0:32 offset1:117
	ds_load_2addr_b32 v[20:21], v2 offset0:74 offset1:176
	;; [unrolled: 1-line block ×5, first 2 shown]
	ds_load_b32 v44, v55 offset:5032
	v_cmp_gt_u16_e64 s0, 17, v51
                                        ; implicit-def: $vgpr38
                                        ; implicit-def: $vgpr41
                                        ; implicit-def: $vgpr39
                                        ; implicit-def: $vgpr42
                                        ; implicit-def: $vgpr40
                                        ; implicit-def: $vgpr43
	s_delay_alu instid0(VALU_DEP_1)
	s_and_saveexec_b32 s1, s0
	s_cbranch_execz .LBB0_9
; %bb.8:
	ds_load_b32 v32, v55 offset:1020
	ds_load_b32 v33, v55 offset:2108
	;; [unrolled: 1-line block ×5, first 2 shown]
	s_wait_dscnt 0x4
	v_lshrrev_b32_e32 v34, 16, v32
	s_wait_dscnt 0x3
	v_lshrrev_b32_e32 v35, 16, v33
	;; [unrolled: 2-line block ×5, first 2 shown]
.LBB0_9:
	s_wait_alu 0xfffe
	s_or_b32 exec_lo, exec_lo, s1
	v_and_b32_e32 v0, 0xff, v51
	v_add_nc_u16 v1, v51, 0x55
	s_wait_dscnt 0x7
	v_lshrrev_b32_e32 v59, 16, v19
	s_wait_dscnt 0x5
	v_lshrrev_b32_e32 v61, 16, v28
	;; [unrolled: 2-line block ×3, first 2 shown]
	v_mul_lo_u16 v0, 0xf1, v0
	v_and_b32_e32 v2, 0xff, v1
	s_wait_dscnt 0x3
	v_lshrrev_b32_e32 v63, 16, v26
	s_wait_dscnt 0x2
	v_lshrrev_b32_e32 v64, 16, v24
	v_lshrrev_b32_e32 v65, 16, v29
	v_lshrrev_b16 v45, 12, v0
	v_add_nc_u16 v0, v51, 0xaa
	v_mul_lo_u16 v2, 0xf1, v2
	s_wait_dscnt 0x1
	v_lshrrev_b32_e32 v66, 16, v22
	v_lshrrev_b32_e32 v67, 16, v27
	v_mul_lo_u16 v3, v45, 17
	v_and_b32_e32 v4, 0xff, v0
	v_lshrrev_b16 v46, 12, v2
	v_and_b32_e32 v45, 0xffff, v45
	v_lshrrev_b32_e32 v68, 16, v25
	v_sub_nc_u16 v3, v51, v3
	v_mul_lo_u16 v4, 0xf1, v4
	v_mul_lo_u16 v2, v46, 17
	v_and_b32_e32 v46, 0xffff, v46
	v_mul_u32_u24_e32 v45, 0x55, v45
	v_and_b32_e32 v47, 0xff, v3
	v_lshrrev_b16 v53, 12, v4
	v_sub_nc_u16 v1, v1, v2
	v_add_nc_u32_e32 v2, 0xff, v51
	v_mul_u32_u24_e32 v46, 0x55, v46
	v_lshlrev_b32_e32 v3, 4, v47
	v_mul_lo_u16 v4, v53, 17
	v_and_b32_e32 v56, 0xff, v1
	v_and_b32_e32 v1, 0xffff, v2
	;; [unrolled: 1-line block ×3, first 2 shown]
	global_load_b128 v[12:15], v3, s[2:3]
	v_sub_nc_u16 v0, v0, v4
	v_add_nc_u32_e32 v45, v45, v47
	v_mul_u32_u24_e32 v1, 0xf0f1, v1
	v_mul_u32_u24_e32 v53, 0x55, v53
	v_add_nc_u32_e32 v46, v46, v56
	v_and_b32_e32 v57, 0xff, v0
	v_lshlrev_b32_e32 v0, 4, v56
	v_lshrrev_b32_e32 v69, 16, v20
	v_lshrrev_b32_e32 v73, 16, v23
	v_add_lshl_u32 v60, v30, v45, 2
	v_add_nc_u32_e32 v47, v53, v57
	global_load_b128 v[8:11], v0, s[2:3]
	v_lshrrev_b32_e32 v0, 20, v1
	v_lshlrev_b32_e32 v3, 4, v57
	s_wait_dscnt 0x0
	v_lshrrev_b32_e32 v53, 16, v44
	v_add_lshl_u32 v57, v30, v47, 2
	v_lshrrev_b32_e32 v37, 16, v16
	v_mul_lo_u16 v0, v0, 17
	global_load_b128 v[4:7], v3, s[2:3]
	v_lshrrev_b32_e32 v36, 16, v17
	v_lshrrev_b32_e32 v72, 16, v18
	s_load_b128 s[4:7], s[4:5], 0x0
	v_sub_nc_u16 v58, v2, v0
	s_delay_alu instid0(VALU_DEP_1) | instskip(SKIP_2) | instid1(VALU_DEP_3)
	v_lshlrev_b16 v0, 2, v58
	v_and_b32_e32 v205, 0xffff, v58
	v_add_lshl_u32 v58, v30, v46, 2
	v_and_b32_e32 v0, 0xffff, v0
	s_delay_alu instid0(VALU_DEP_1)
	v_lshlrev_b32_e32 v0, 2, v0
	global_load_b128 v[0:3], v0, s[2:3]
	global_wb scope:SCOPE_SE
	s_wait_loadcnt 0x0
	s_wait_kmcnt 0x0
	s_barrier_signal -1
	s_barrier_wait -1
	global_inv scope:SCOPE_SE
	v_lshrrev_b32_e32 v90, 16, v12
	v_lshrrev_b32_e32 v88, 16, v13
	;; [unrolled: 1-line block ×4, first 2 shown]
	s_delay_alu instid0(VALU_DEP_4)
	v_mul_f16_e32 v45, v59, v90
	v_mul_f16_e32 v46, v19, v90
	;; [unrolled: 1-line block ×8, first 2 shown]
	v_lshrrev_b32_e32 v210, 16, v8
	v_lshrrev_b32_e32 v83, 16, v9
	;; [unrolled: 1-line block ×4, first 2 shown]
	v_fma_f16 v45, v19, v12, -v45
	v_fmac_f16_e32 v46, v59, v12
	v_lshrrev_b32_e32 v77, 16, v4
	v_lshrrev_b32_e32 v76, 16, v5
	;; [unrolled: 1-line block ×4, first 2 shown]
	v_fma_f16 v28, v28, v13, -v47
	v_fmac_f16_e32 v75, v61, v13
	v_fma_f16 v47, v21, v14, -v78
	v_fmac_f16_e32 v79, v62, v14
	;; [unrolled: 2-line block ×3, first 2 shown]
	v_mul_f16_e64 v19, v64, v210
	v_mul_f16_e64 v82, v24, v210
	v_mul_f16_e32 v21, v65, v83
	v_mul_f16_e32 v87, v29, v83
	;; [unrolled: 1-line block ×14, first 2 shown]
	v_lshrrev_b32_e32 v209, 16, v0
	v_lshrrev_b32_e32 v208, 16, v1
	;; [unrolled: 1-line block ×4, first 2 shown]
	v_fma_f16 v101, v24, v8, -v19
	v_fmac_f16_e32 v82, v64, v8
	v_fma_f16 v29, v29, v9, -v21
	v_fmac_f16_e32 v87, v65, v9
	;; [unrolled: 2-line block ×8, first 2 shown]
	v_mul_f16_e64 v23, v35, v209
	v_mul_f16_e64 v22, v33, v209
	;; [unrolled: 1-line block ×8, first 2 shown]
	v_add_f16_e32 v68, v16, v45
	v_add_f16_e32 v69, v28, v47
	v_sub_f16_e32 v73, v46, v84
	v_sub_f16_e32 v93, v45, v28
	v_sub_f16_e32 v95, v78, v47
	v_add_f16_e32 v97, v45, v78
	v_sub_f16_e32 v99, v28, v45
	v_sub_f16_e32 v102, v47, v78
	v_add_f16_e32 v103, v37, v46
	v_add_f16_e32 v104, v75, v79
	v_sub_f16_e32 v106, v46, v75
	v_sub_f16_e32 v107, v84, v79
	v_add_f16_e32 v108, v46, v84
	v_sub_f16_e32 v46, v75, v46
	v_sub_f16_e32 v109, v79, v84
	;; [unrolled: 1-line block ×5, first 2 shown]
	v_fma_f16 v24, v33, v0, -v23
	v_fmac_f16_e32 v22, v35, v0
	v_fma_f16 v25, v38, v1, -v25
	v_fmac_f16_e32 v20, v41, v1
	;; [unrolled: 2-line block ×4, first 2 shown]
	v_add_f16_e32 v28, v68, v28
	v_fma_f16 v35, -0.5, v69, v16
	v_add_f16_e32 v33, v93, v95
	v_fma_f16 v16, -0.5, v97, v16
	v_add_f16_e32 v38, v99, v102
	v_add_f16_e32 v39, v103, v75
	v_fma_f16 v40, -0.5, v104, v37
	v_add_f16_e32 v41, v106, v107
	v_fmac_f16_e32 v37, -0.5, v108
	v_add_f16_e32 v42, v46, v109
	v_add_f16_e32 v43, v17, v101
	;; [unrolled: 1-line block ×3, first 2 shown]
	v_sub_f16_e32 v69, v101, v29
	v_sub_f16_e32 v75, v27, v64
	v_add_f16_e32 v93, v101, v27
	v_sub_f16_e32 v95, v29, v101
	v_sub_f16_e32 v97, v64, v27
	v_add_f16_e32 v99, v36, v82
	v_add_f16_e32 v102, v87, v89
	v_sub_f16_e32 v104, v82, v87
	v_sub_f16_e32 v106, v92, v89
	v_add_f16_e32 v109, v18, v65
	v_add_f16_e32 v110, v66, v67
	v_sub_f16_e32 v113, v65, v66
	v_add_f16_e32 v115, v65, v44
	v_sub_f16_e32 v116, v66, v65
	v_sub_f16_e32 v120, v65, v44
	;; [unrolled: 1-line block ×4, first 2 shown]
	v_add_f16_e32 v107, v82, v92
	v_add_f16_e32 v118, v72, v94
	;; [unrolled: 1-line block ×4, first 2 shown]
	v_sub_f16_e32 v53, v82, v92
	v_sub_f16_e32 v68, v87, v89
	;; [unrolled: 1-line block ×8, first 2 shown]
	v_add_f16_e32 v28, v28, v47
	v_fmamk_f16 v47, v73, 0x3b9c, v35
	v_fmac_f16_e32 v35, 0xbb9c, v73
	v_add_f16_e32 v39, v39, v79
	v_fmamk_f16 v79, v45, 0xbb9c, v40
	v_fmamk_f16 v126, v105, 0x3b9c, v37
	v_fmac_f16_e32 v37, 0xbb9c, v105
	v_add_f16_e32 v29, v43, v29
	v_fma_f16 v43, -0.5, v46, v17
	v_add_f16_e32 v46, v69, v75
	v_fmac_f16_e32 v17, -0.5, v93
	v_add_f16_e32 v75, v95, v97
	v_add_f16_e32 v69, v99, v87
	v_fma_f16 v87, -0.5, v102, v36
	v_add_f16_e32 v93, v104, v106
	v_add_f16_e32 v66, v109, v66
	v_fma_f16 v95, -0.5, v110, v18
	v_fmac_f16_e32 v18, -0.5, v115
	v_add_f16_e32 v106, v65, v122
	v_add_f16_e32 v65, v25, v26
	;; [unrolled: 1-line block ×5, first 2 shown]
	v_fmamk_f16 v125, v91, 0xbb9c, v16
	v_fmac_f16_e32 v16, 0x3b9c, v91
	v_fmac_f16_e32 v36, -0.5, v107
	v_fmac_f16_e32 v40, 0x3b9c, v45
	v_sub_f16_e32 v111, v94, v100
	v_sub_f16_e32 v112, v96, v98
	;; [unrolled: 1-line block ×3, first 2 shown]
	v_add_f16_e32 v96, v118, v96
	v_fma_f16 v104, -0.5, v119, v72
	v_fmac_f16_e32 v72, -0.5, v123
	v_sub_f16_e32 v114, v44, v67
	v_sub_f16_e32 v124, v98, v100
	v_add_f16_e32 v82, v82, v108
	v_add_f16_e32 v102, v116, v117
	v_sub_f16_e32 v107, v22, v19
	v_sub_f16_e32 v108, v20, v21
	;; [unrolled: 1-line block ×6, first 2 shown]
	v_add_f16_e32 v28, v28, v78
	v_fmac_f16_e32 v47, 0x38b4, v91
	v_fmac_f16_e32 v35, 0xb8b4, v91
	;; [unrolled: 1-line block ×5, first 2 shown]
	v_add_f16_e32 v29, v29, v64
	v_fmamk_f16 v45, v53, 0x3b9c, v43
	v_fmac_f16_e32 v43, 0xbb9c, v53
	v_add_f16_e32 v69, v69, v89
	v_fmamk_f16 v78, v101, 0xbb9c, v87
	v_add_f16_e32 v89, v66, v67
	v_fma_f16 v64, -0.5, v65, v32
	v_fma_f16 v65, -0.5, v110, v32
	;; [unrolled: 1-line block ×4, first 2 shown]
	v_fmac_f16_e32 v125, 0x38b4, v73
	v_fmac_f16_e32 v16, 0xb8b4, v73
	v_add_f16_e32 v39, v39, v84
	v_fmamk_f16 v73, v68, 0xbb9c, v17
	v_fmac_f16_e32 v17, 0x3b9c, v68
	v_fmamk_f16 v84, v103, 0x3b9c, v36
	v_fmac_f16_e32 v36, 0xbb9c, v103
	v_fmac_f16_e32 v40, 0x38b4, v105
	;; [unrolled: 1-line block ×3, first 2 shown]
	v_fmamk_f16 v91, v111, 0x3b9c, v95
	v_add_f16_e32 v96, v96, v98
	v_fmamk_f16 v98, v120, 0xbb9c, v104
	v_fmamk_f16 v105, v112, 0xbb9c, v18
	v_fmac_f16_e32 v18, 0x3b9c, v112
	v_fmamk_f16 v127, v121, 0x3b9c, v72
	v_fmac_f16_e32 v72, 0xbb9c, v121
	v_add_f16_e32 v99, v113, v114
	v_add_f16_e32 v94, v94, v124
	v_sub_f16_e32 v113, v25, v24
	v_sub_f16_e32 v114, v26, v23
	;; [unrolled: 1-line block ×6, first 2 shown]
	v_fmac_f16_e32 v95, 0xbb9c, v111
	v_fmac_f16_e32 v104, 0x3b9c, v120
	v_add_f16_e32 v109, v97, v109
	v_fmac_f16_e32 v47, 0x34f2, v33
	v_fmac_f16_e32 v35, 0x34f2, v33
	;; [unrolled: 1-line block ×3, first 2 shown]
	v_add_f16_e32 v27, v29, v27
	v_fmac_f16_e32 v45, 0x38b4, v68
	v_fmac_f16_e32 v43, 0xb8b4, v68
	v_add_f16_e32 v29, v69, v92
	v_fmac_f16_e32 v78, 0xb8b4, v103
	v_fmamk_f16 v33, v107, 0x3b9c, v64
	v_fmac_f16_e32 v64, 0xbb9c, v107
	v_fmamk_f16 v68, v108, 0xbb9c, v65
	;; [unrolled: 2-line block ×4, first 2 shown]
	v_fmac_f16_e32 v67, 0xbb9c, v117
	v_fmac_f16_e32 v125, 0x34f2, v38
	;; [unrolled: 1-line block ×17, first 2 shown]
	v_add_f16_e32 v110, v113, v114
	v_add_f16_e32 v113, v118, v119
	;; [unrolled: 1-line block ×3, first 2 shown]
	v_fmac_f16_e32 v95, 0xb8b4, v112
	v_fmac_f16_e32 v104, 0x38b4, v121
	v_pack_b32_f16 v28, v28, v39
	v_fmac_f16_e32 v45, 0x34f2, v46
	v_fmac_f16_e32 v78, 0x34f2, v93
	;; [unrolled: 1-line block ×10, first 2 shown]
	v_pack_b32_f16 v39, v47, v79
	v_fmac_f16_e32 v73, 0x34f2, v75
	v_fmac_f16_e32 v17, 0x34f2, v75
	;; [unrolled: 1-line block ×4, first 2 shown]
	v_pack_b32_f16 v42, v125, v126
	v_pack_b32_f16 v16, v16, v37
	v_fmac_f16_e32 v43, 0x34f2, v46
	v_fmac_f16_e32 v87, 0x34f2, v93
	v_pack_b32_f16 v35, v35, v40
	v_add_f16_e32 v38, v89, v44
	v_add_f16_e32 v41, v96, v100
	v_fmac_f16_e32 v91, 0x34f2, v99
	v_fmac_f16_e32 v98, 0x34f2, v106
	;; [unrolled: 1-line block ×8, first 2 shown]
	v_pack_b32_f16 v27, v27, v29
	v_fmac_f16_e32 v33, 0x34f2, v109
	v_fmac_f16_e32 v64, 0x34f2, v109
	;; [unrolled: 1-line block ×8, first 2 shown]
	ds_store_2addr_b32 v60, v28, v39 offset1:17
	ds_store_2addr_b32 v60, v42, v16 offset0:34 offset1:51
	ds_store_b32 v60, v35 offset:272
	v_pack_b32_f16 v16, v45, v78
	v_pack_b32_f16 v28, v73, v84
	;; [unrolled: 1-line block ×9, first 2 shown]
	ds_store_2addr_b32 v58, v27, v16 offset1:17
	ds_store_2addr_b32 v58, v28, v17 offset0:34 offset1:51
	ds_store_b32 v58, v35 offset:272
	ds_store_2addr_b32 v57, v29, v36 offset1:17
	ds_store_2addr_b32 v57, v37, v18 offset0:34 offset1:51
	ds_store_b32 v57, v38 offset:272
	s_and_saveexec_b32 s1, s0
	s_cbranch_execz .LBB0_11
; %bb.10:
	v_add_f16_e32 v16, v34, v22
	v_add_f16_e32 v17, v32, v24
	v_add_lshl_u32 v18, v30, v205, 2
	s_delay_alu instid0(VALU_DEP_3) | instskip(NEXT) | instid1(VALU_DEP_3)
	v_add_f16_e32 v16, v16, v20
	v_add_f16_e32 v17, v17, v25
	v_perm_b32 v20, v97, v33, 0x5040100
	s_delay_alu instid0(VALU_DEP_4) | instskip(NEXT) | instid1(VALU_DEP_4)
	v_add_nc_u32_e32 v22, 0x1200, v18
	v_add_f16_e32 v16, v16, v21
	s_delay_alu instid0(VALU_DEP_4) | instskip(SKIP_1) | instid1(VALU_DEP_3)
	v_add_f16_e32 v17, v17, v26
	v_perm_b32 v21, v67, v65, 0x5040100
	v_add_f16_e32 v16, v16, v19
	s_delay_alu instid0(VALU_DEP_3) | instskip(SKIP_2) | instid1(VALU_DEP_3)
	v_add_f16_e32 v17, v17, v23
	v_perm_b32 v19, v69, v68, 0x5040100
	v_add_nc_u32_e32 v23, 0x1400, v18
	v_pack_b32_f16 v16, v17, v16
	v_perm_b32 v17, v66, v64, 0x5040100
	ds_store_2addr_b32 v23, v19, v21 offset0:29 offset1:46
	ds_store_2addr_b32 v22, v16, v20 offset0:123 offset1:140
	ds_store_b32 v18, v17 offset:5372
.LBB0_11:
	s_wait_alu 0xfffe
	s_or_b32 exec_lo, exec_lo, s1
	v_mad_co_u64_u32 v[28:29], null, v51, 60, s[2:3]
	global_wb scope:SCOPE_SE
	s_wait_dscnt 0x0
	s_barrier_signal -1
	s_barrier_wait -1
	global_inv scope:SCOPE_SE
	v_add_nc_u32_e32 v32, 0x200, v55
	v_add_nc_u32_e32 v38, 0x400, v55
	s_clause 0x3
	global_load_b128 v[24:27], v[28:29], off offset:272
	global_load_b128 v[20:23], v[28:29], off offset:288
	;; [unrolled: 1-line block ×3, first 2 shown]
	global_load_b96 v[28:30], v[28:29], off offset:320
	v_add_nc_u32_e32 v40, 0x800, v55
	v_add_nc_u32_e32 v42, 0xa00, v55
	ds_load_2addr_b32 v[34:35], v55 offset1:85
	ds_load_b32 v100, v55 offset:680
	ds_load_b32 v101, v55 offset:5100
	ds_load_2addr_b32 v[36:37], v32 offset0:127 offset1:212
	v_add_nc_u32_e32 v32, 0xc00, v55
	v_add_nc_u32_e32 v46, 0x1000, v55
	ds_load_2addr_b32 v[38:39], v38 offset0:169 offset1:254
	ds_load_2addr_b32 v[40:41], v40 offset0:83 offset1:168
	;; [unrolled: 1-line block ×5, first 2 shown]
	v_lshl_add_u32 v53, v51, 2, v204
	s_delay_alu instid0(VALU_DEP_1)
	v_add_nc_u32_e32 v98, 0x200, v53
	v_add_nc_u32_e32 v99, 0x400, v53
	;; [unrolled: 1-line block ×6, first 2 shown]
	s_wait_dscnt 0x7
	v_lshrrev_b32_e32 v103, 16, v100
	v_lshrrev_b32_e32 v102, 16, v35
	s_wait_dscnt 0x6
	v_lshrrev_b32_e32 v104, 16, v101
	s_wait_dscnt 0x5
	v_lshrrev_b32_e32 v105, 16, v36
	v_lshrrev_b32_e32 v106, 16, v37
	s_wait_dscnt 0x4
	v_lshrrev_b32_e32 v107, 16, v38
	;; [unrolled: 3-line block ×6, first 2 shown]
	v_lshrrev_b32_e32 v118, 16, v47
	v_lshrrev_b32_e32 v32, 16, v34
	s_wait_loadcnt 0x3
	v_lshrrev_b32_e32 v96, 16, v24
	v_lshrrev_b32_e32 v95, 16, v25
	v_lshrrev_b32_e32 v94, 16, v26
	v_lshrrev_b32_e32 v93, 16, v27
	s_wait_loadcnt 0x2
	v_lshrrev_b32_e32 v92, 16, v20
	v_lshrrev_b32_e32 v91, 16, v21
	v_lshrrev_b32_e32 v89, 16, v22
	v_lshrrev_b32_e32 v87, 16, v23
	s_wait_loadcnt 0x1
	v_lshrrev_b32_e32 v84, 16, v16
	v_lshrrev_b32_e32 v82, 16, v17
	v_lshrrev_b32_e32 v79, 16, v18
	v_lshrrev_b32_e32 v78, 16, v19
	s_wait_loadcnt 0x0
	v_lshrrev_b32_e32 v75, 16, v28
	v_lshrrev_b32_e32 v73, 16, v29
	v_lshrrev_b32_e32 v72, 16, v30
	v_mul_f16_e32 v121, v102, v96
	v_mul_f16_e32 v122, v35, v96
	;; [unrolled: 1-line block ×7, first 2 shown]
	v_mul_f16_e64 v128, v37, v93
	v_mul_f16_e64 v129, v107, v92
	v_mul_f16_e64 v130, v38, v92
	v_mul_f16_e64 v131, v108, v91
	v_mul_f16_e64 v132, v39, v91
	v_mul_f16_e64 v133, v109, v89
	v_mul_f16_e64 v134, v40, v89
	v_mul_f16_e64 v135, v110, v87
	v_mul_f16_e64 v136, v41, v87
	v_mul_f16_e64 v137, v111, v84
	v_mul_f16_e64 v138, v42, v84
	v_mul_f16_e64 v139, v112, v82
	v_mul_f16_e64 v140, v43, v82
	v_mul_f16_e64 v141, v114, v79
	v_mul_f16_e64 v142, v44, v79
	v_mul_f16_e64 v143, v115, v78
	v_mul_f16_e64 v144, v45, v78
	v_mul_f16_e64 v145, v116, v75
	v_mul_f16_e64 v146, v46, v75
	v_mul_f16_e64 v147, v118, v73
	v_mul_f16_e64 v148, v47, v73
	v_mul_f16_e64 v149, v104, v72
	v_mul_f16_e64 v150, v101, v72
	v_fma_f16 v35, v35, v24, -v121
	v_fmac_f16_e32 v122, v102, v24
	v_fma_f16 v100, v100, v25, -v123
	v_fmac_f16_e32 v124, v103, v25
	;; [unrolled: 2-line block ×3, first 2 shown]
	v_fma_f16 v37, v37, v27, -v127
	v_fmac_f16_e64 v128, v106, v27
	v_fma_f16 v38, v38, v20, -v129
	v_fmac_f16_e64 v130, v107, v20
	v_fma_f16 v39, v39, v21, -v131
	v_fmac_f16_e64 v132, v108, v21
	v_fma_f16 v40, v40, v22, -v133
	v_fmac_f16_e64 v134, v109, v22
	v_fma_f16 v41, v41, v23, -v135
	v_fmac_f16_e64 v136, v110, v23
	v_fma_f16 v42, v42, v16, -v137
	v_fmac_f16_e64 v138, v111, v16
	v_fma_f16 v43, v43, v17, -v139
	v_fmac_f16_e64 v140, v112, v17
	v_fma_f16 v44, v44, v18, -v141
	v_fmac_f16_e64 v142, v114, v18
	v_fma_f16 v45, v45, v19, -v143
	v_fmac_f16_e64 v144, v115, v19
	v_fma_f16 v46, v46, v28, -v145
	v_fmac_f16_e64 v146, v116, v28
	v_fma_f16 v47, v47, v29, -v147
	v_fmac_f16_e64 v148, v118, v29
	v_fma_f16 v101, v101, v30, -v149
	v_fmac_f16_e64 v150, v104, v30
	v_sub_f16_e32 v41, v34, v41
	v_sub_f16_e64 v102, v32, v136
	v_sub_f16_e32 v45, v37, v45
	v_sub_f16_e64 v103, v128, v144
	v_sub_f16_e32 v43, v100, v43
	v_sub_f16_e64 v104, v124, v140
	v_sub_f16_e32 v47, v39, v47
	v_sub_f16_e64 v105, v132, v148
	v_sub_f16_e32 v42, v35, v42
	v_sub_f16_e64 v106, v122, v138
	v_sub_f16_e32 v46, v38, v46
	v_sub_f16_e64 v107, v130, v146
	v_sub_f16_e32 v44, v36, v44
	v_sub_f16_e64 v108, v126, v142
	v_sub_f16_e32 v101, v40, v101
	v_sub_f16_e64 v109, v134, v150
	v_fma_f16 v34, v34, 2.0, -v41
	v_fma_f16 v32, v32, 2.0, -v102
	;; [unrolled: 1-line block ×16, first 2 shown]
	v_sub_f16_e32 v103, v41, v103
	v_add_f16_e32 v45, v102, v45
	v_sub_f16_e32 v105, v43, v105
	v_add_f16_e32 v47, v104, v47
	;; [unrolled: 2-line block ×4, first 2 shown]
	v_sub_f16_e32 v37, v34, v37
	v_sub_f16_e32 v110, v32, v110
	v_fma_f16 v41, v41, 2.0, -v103
	v_fma_f16 v102, v102, 2.0, -v45
	v_sub_f16_e32 v39, v100, v39
	v_sub_f16_e32 v112, v111, v112
	v_fma_f16 v43, v43, 2.0, -v105
	v_fma_f16 v104, v104, 2.0, -v47
	;; [unrolled: 4-line block ×4, first 2 shown]
	v_fmamk_f16 v121, v105, 0x39a8, v103
	v_fmamk_f16 v122, v47, 0x39a8, v45
	;; [unrolled: 1-line block ×4, first 2 shown]
	v_fma_f16 v34, v34, 2.0, -v37
	v_fma_f16 v125, v32, 2.0, -v110
	v_fma_f16 v32, v100, 2.0, -v39
	v_fma_f16 v100, v111, 2.0, -v112
	v_fma_f16 v111, v35, 2.0, -v38
	v_fma_f16 v114, v114, 2.0, -v115
	v_fma_f16 v35, v36, 2.0, -v40
	v_fma_f16 v36, v116, 2.0, -v118
	v_fmamk_f16 v126, v43, 0xb9a8, v41
	v_fmamk_f16 v127, v104, 0xb9a8, v102
	v_fmac_f16_e32 v121, 0xb9a8, v47
	v_fmamk_f16 v47, v44, 0xb9a8, v42
	v_fma_f16 v128, 0xb9a8, v108, v106
	v_add_f16_e32 v116, v110, v39
	v_fmac_f16_e32 v122, 0x39a8, v105
	v_fmac_f16_e32 v123, 0xb9a8, v101
	;; [unrolled: 1-line block ×3, first 2 shown]
	v_sub_f16_e32 v112, v37, v112
	v_sub_f16_e32 v118, v38, v118
	v_add_f16_e32 v40, v115, v40
	v_sub_f16_e32 v109, v34, v32
	v_sub_f16_e64 v129, v125, v100
	v_fmac_f16_e32 v126, 0xb9a8, v104
	v_fmac_f16_e32 v127, 0x39a8, v43
	v_sub_f16_e32 v43, v111, v35
	v_sub_f16_e32 v36, v114, v36
	v_fmac_f16_e32 v47, 0xb9a8, v108
	v_fmac_f16_e64 v128, 0x39a8, v44
	v_fma_f16 v131, v110, 2.0, -v116
	v_fma_f16 v132, v103, 2.0, -v121
	;; [unrolled: 1-line block ×8, first 2 shown]
	v_fmamk_f16 v35, v118, 0x39a8, v112
	v_fma_f16 v115, v34, 2.0, -v109
	v_fma_f16 v125, v125, 2.0, -v129
	;; [unrolled: 1-line block ×8, first 2 shown]
	v_fma_f16 v38, 0xb61f, v110, v132
	v_fma_f16 v105, 0xb61f, v46, v133
	v_fmamk_f16 v101, v40, 0x39a8, v116
	v_fmamk_f16 v34, v47, 0x361f, v126
	v_fma_f16 v103, 0x361f, v128, v127
	v_fmamk_f16 v32, v123, 0x3b64, v121
	v_fmamk_f16 v100, v124, 0x3b64, v122
	v_fma_f16 v37, 0xb9a8, v44, v130
	v_fma_f16 v106, 0xb9a8, v45, v131
	v_sub_f16_e32 v39, v109, v36
	v_fmac_f16_e32 v35, 0xb9a8, v40
	v_sub_f16_e32 v41, v115, v41
	v_sub_f16_e32 v108, v125, v102
	v_fma_f16 v36, 0xbb64, v42, v134
	v_fma_f16 v107, 0xbb64, v114, v135
	v_add_f16_e64 v104, v129, v43
	v_fmac_f16_e32 v38, 0xbb64, v46
	v_fmac_f16_e32 v105, 0x3b64, v110
	;; [unrolled: 1-line block ×3, first 2 shown]
	v_fmac_f16_e64 v34, 0xbb64, v128
	v_fmac_f16_e32 v103, 0x3b64, v47
	v_fmac_f16_e32 v32, 0xb61f, v124
	;; [unrolled: 1-line block ×5, first 2 shown]
	v_fma_f16 v45, v112, 2.0, -v35
	v_fma_f16 v102, v115, 2.0, -v41
	;; [unrolled: 1-line block ×3, first 2 shown]
	v_fmac_f16_e32 v36, 0xb61f, v114
	v_fmac_f16_e32 v107, 0x361f, v42
	v_fma_f16 v43, v109, 2.0, -v39
	v_fma_f16 v111, v129, 2.0, -v104
	;; [unrolled: 1-line block ×13, first 2 shown]
	v_pack_b32_f16 v131, v102, v112
	v_pack_b32_f16 v124, v43, v111
	;; [unrolled: 1-line block ×16, first 2 shown]
	ds_store_b32 v53, v131
	ds_store_2addr_b32 v98, v133, v124 offset0:127 offset1:212
	ds_store_2addr_b32 v99, v134, v125 offset0:169 offset1:254
	;; [unrolled: 1-line block ×6, first 2 shown]
	ds_store_b32 v53, v123 offset:5100
	ds_store_2addr_b32 v53, v136, v132 offset0:85 offset1:170
	global_wb scope:SCOPE_SE
	s_wait_dscnt 0x0
	s_barrier_signal -1
	s_barrier_wait -1
	global_inv scope:SCOPE_SE
	s_and_saveexec_b32 s1, vcc_lo
	s_cbranch_execz .LBB0_13
; %bb.12:
	global_load_b32 v121, v49, s[12:13] offset:5440
	s_add_nc_u64 s[2:3], s[12:13], 0x1540
	s_clause 0xf
	global_load_b32 v137, v49, s[2:3] offset:320
	global_load_b32 v138, v49, s[2:3] offset:640
	;; [unrolled: 1-line block ×16, first 2 shown]
	ds_load_b32 v122, v53
	v_add_nc_u32_e32 v153, 0x1200, v53
	s_wait_dscnt 0x0
	v_lshrrev_b32_e32 v123, 16, v122
	s_wait_loadcnt 0xf
	v_lshrrev_b32_e32 v154, 16, v137
	s_wait_loadcnt 0xe
	;; [unrolled: 2-line block ×12, first 2 shown]
	v_lshrrev_b32_e32 v165, 16, v148
	v_lshrrev_b32_e32 v124, 16, v121
	s_wait_loadcnt 0x3
	v_lshrrev_b32_e32 v166, 16, v149
	s_wait_loadcnt 0x2
	;; [unrolled: 2-line block ×4, first 2 shown]
	v_lshrrev_b32_e32 v169, 16, v152
	v_mul_f16_e32 v125, v123, v124
	v_mul_f16_e32 v124, v122, v124
	s_delay_alu instid0(VALU_DEP_2) | instskip(NEXT) | instid1(VALU_DEP_2)
	v_fma_f16 v122, v122, v121, -v125
	v_fmac_f16_e32 v124, v123, v121
	s_delay_alu instid0(VALU_DEP_1)
	v_pack_b32_f16 v121, v122, v124
	ds_store_b32 v53, v121
	ds_load_2addr_b32 v[121:122], v53 offset0:80 offset1:160
	ds_load_2addr_b32 v[123:124], v98 offset0:112 offset1:192
	;; [unrolled: 1-line block ×8, first 2 shown]
	s_wait_dscnt 0x7
	v_lshrrev_b32_e32 v170, 16, v121
	v_lshrrev_b32_e32 v172, 16, v122
	s_wait_dscnt 0x6
	v_lshrrev_b32_e32 v174, 16, v123
	v_lshrrev_b32_e32 v176, 16, v124
	;; [unrolled: 3-line block ×5, first 2 shown]
	v_mul_f16_e64 v171, v121, v154
	v_mul_f16_e64 v173, v122, v155
	s_wait_dscnt 0x2
	v_lshrrev_b32_e32 v190, 16, v131
	v_lshrrev_b32_e32 v192, 16, v132
	s_wait_dscnt 0x1
	v_lshrrev_b32_e32 v194, 16, v133
	v_lshrrev_b32_e32 v196, 16, v134
	;; [unrolled: 3-line block ×3, first 2 shown]
	v_mul_f16_e64 v154, v170, v154
	v_mul_f16_e64 v155, v172, v155
	;; [unrolled: 1-line block ×24, first 2 shown]
	v_fmac_f16_e64 v171, v170, v137
	v_fmac_f16_e64 v173, v172, v138
	v_mul_f16_e64 v164, v190, v164
	v_mul_f16_e64 v165, v192, v165
	;; [unrolled: 1-line block ×6, first 2 shown]
	v_fma_f16 v121, v121, v137, -v154
	v_fma_f16 v122, v122, v138, -v155
	v_fmac_f16_e64 v175, v174, v139
	v_fmac_f16_e64 v177, v176, v140
	v_fma_f16 v123, v123, v139, -v156
	v_fma_f16 v124, v124, v140, -v157
	v_fmac_f16_e64 v179, v178, v141
	v_fmac_f16_e64 v181, v180, v142
	;; [unrolled: 4-line block ×5, first 2 shown]
	v_fmac_f16_e64 v195, v194, v149
	v_fmac_f16_e64 v197, v196, v150
	v_fmac_f16_e64 v199, v198, v151
	v_fmac_f16_e64 v201, v200, v152
	v_fma_f16 v131, v131, v147, -v164
	v_fma_f16 v132, v132, v148, -v165
	;; [unrolled: 1-line block ×6, first 2 shown]
	v_pack_b32_f16 v121, v121, v171
	v_pack_b32_f16 v122, v122, v173
	;; [unrolled: 1-line block ×16, first 2 shown]
	ds_store_2addr_b32 v53, v121, v122 offset0:80 offset1:160
	ds_store_2addr_b32 v98, v123, v124 offset0:112 offset1:192
	;; [unrolled: 1-line block ×8, first 2 shown]
.LBB0_13:
	s_wait_alu 0xfffe
	s_or_b32 exec_lo, exec_lo, s1
	global_wb scope:SCOPE_SE
	s_wait_dscnt 0x0
	s_barrier_signal -1
	s_barrier_wait -1
	global_inv scope:SCOPE_SE
	s_and_saveexec_b32 s1, vcc_lo
	s_cbranch_execz .LBB0_15
; %bb.14:
	v_add_nc_u32_e32 v32, 0x200, v53
	v_add_nc_u32_e32 v33, 0x400, v53
	;; [unrolled: 1-line block ×3, first 2 shown]
	ds_load_b32 v102, v53
	ds_load_2addr_b32 v[46:47], v53 offset0:80 offset1:160
	ds_load_2addr_b32 v[42:43], v32 offset0:112 offset1:192
	v_add_nc_u32_e32 v32, 0xa00, v53
	ds_load_2addr_b32 v[44:45], v33 offset0:144 offset1:224
	v_add_nc_u32_e32 v33, 0xc00, v53
	;; [unrolled: 2-line block ×4, first 2 shown]
	ds_load_2addr_b32 v[38:39], v33 offset0:112 offset1:192
	ds_load_2addr_b32 v[34:35], v34 offset0:16 offset1:96
	;; [unrolled: 1-line block ×3, first 2 shown]
	s_wait_dscnt 0x8
	v_lshrrev_b32_e32 v112, 16, v102
	s_wait_dscnt 0x7
	v_lshrrev_b32_e32 v118, 16, v46
	v_lshrrev_b32_e32 v116, 16, v47
	s_wait_dscnt 0x6
	v_lshrrev_b32_e32 v115, 16, v42
	;; [unrolled: 3-line block ×8, first 2 shown]
	v_lshrrev_b32_e32 v97, 16, v33
.LBB0_15:
	s_wait_alu 0xfffe
	s_or_b32 exec_lo, exec_lo, s1
	s_delay_alu instid0(VALU_DEP_1)
	v_sub_f16_e64 v175, v118, v97
	v_add_f16_e64 v147, v97, v118
	v_add_f16_e32 v119, v33, v46
	v_sub_f16_e64 v176, v116, v100
	v_sub_f16_e32 v121, v46, v33
	v_mul_f16_e64 v50, 0xb5c8, v175
	v_mul_f16_e64 v52, 0x3b76, v147
	v_add_f16_e32 v123, v32, v47
	v_add_f16_e64 v149, v100, v116
	v_mul_f16_e64 v163, 0xb964, v176
	v_fma_f16 v98, v119, 0x3b76, -v50
	v_fmamk_f16 v99, v121, 0xb5c8, v52
	v_mul_f16_e64 v70, 0xb964, v175
	v_mul_f16_e64 v122, 0x39e9, v147
	v_fma_f16 v127, v123, 0x39e9, -v163
	v_add_f16_e32 v98, v102, v98
	v_sub_f16_e32 v125, v47, v32
	v_mul_f16_e64 v170, 0x39e9, v149
	v_sub_f16_e64 v177, v115, v101
	v_add_f16_e32 v99, v112, v99
	v_fma_f16 v113, v119, 0x39e9, -v70
	v_fmamk_f16 v117, v121, 0xb964, v122
	v_add_f16_e32 v98, v127, v98
	v_fma_f16 v129, 0xb964, v125, v170
	v_mul_f16_e64 v160, 0xbbf7, v176
	v_mul_f16_e64 v134, 0x2de8, v149
	v_add_f16_e32 v127, v35, v42
	v_mul_f16_e64 v164, 0xbb29, v177
	v_add_f16_e64 v161, v101, v115
	v_add_f16_e32 v113, v102, v113
	v_add_f16_e32 v117, v112, v117
	v_add_f16_e64 v99, v129, v99
	v_fma_f16 v131, v123, 0x2de8, -v160
	v_fma_f16 v132, 0xbbf7, v125, v134
	v_fma_f16 v133, v127, 0x3722, -v164
	v_sub_f16_e64 v129, v42, v35
	v_mul_f16_e64 v165, 0x3722, v161
	v_sub_f16_e64 v178, v111, v103
	v_add_f16_e64 v113, v131, v113
	v_add_f16_e64 v117, v132, v117
	;; [unrolled: 1-line block ×3, first 2 shown]
	v_fma_f16 v133, 0xbb29, v129, v165
	v_mul_f16_e64 v132, 0xba62, v177
	v_mul_f16_e64 v138, 0xb8d2, v161
	v_add_f16_e64 v131, v34, v43
	v_mul_f16_e64 v172, 0xbbf7, v178
	v_add_f16_e64 v166, v103, v111
	v_add_f16_e64 v99, v133, v99
	v_fma_f16 v136, v127, 0xb8d2, -v132
	v_fma_f16 v137, 0xba62, v129, v138
	v_fma_f16 v139, v131, 0x2de8, -v172
	v_sub_f16_e64 v133, v43, v34
	v_mul_f16_e64 v168, 0x2de8, v166
	v_sub_f16_e64 v179, v114, v104
	v_mul_f16_e64 v140, 0xb1e1, v178
	v_mul_f16_e64 v146, 0xbbdd, v166
	v_add_f16_e64 v169, v104, v114
	v_add_f16_e64 v113, v136, v113
	;; [unrolled: 1-line block ×4, first 2 shown]
	v_fma_f16 v142, 0xbbf7, v133, v168
	v_add_f16_e64 v136, v39, v44
	v_mul_f16_e64 v126, 0xbbb2, v179
	v_fma_f16 v143, v131, 0xbbdd, -v140
	v_fma_f16 v144, 0xb1e1, v133, v146
	v_sub_f16_e64 v139, v44, v39
	v_mul_f16_e64 v162, 0xb461, v169
	v_sub_f16_e64 v180, v110, v105
	v_mul_f16_e64 v148, 0x3836, v179
	v_add_f16_e64 v171, v105, v110
	v_fma_f16 v145, v136, 0xb461, -v126
	v_add_f16_e64 v99, v142, v99
	v_add_f16_e64 v113, v143, v113
	;; [unrolled: 1-line block ×3, first 2 shown]
	v_fma_f16 v150, 0xbbb2, v139, v162
	v_mul_f16_e64 v154, 0xbacd, v169
	v_add_f16_e64 v142, v38, v45
	v_mul_f16_e64 v128, 0xba62, v180
	v_sub_f16_e64 v144, v45, v38
	v_mul_f16_e64 v130, 0xb8d2, v171
	v_fma_f16 v151, v136, 0xbacd, -v148
	v_add_f16_e64 v98, v145, v98
	v_fma_f16 v152, 0x3836, v139, v154
	v_fma_f16 v153, v142, 0xb8d2, -v128
	v_add_f16_e64 v99, v150, v99
	v_fma_f16 v150, 0xba62, v144, v130
	v_add_f16_e64 v113, v151, v113
	v_mul_f16_e64 v151, 0x3bb2, v180
	v_sub_f16_e64 v181, v109, v106
	v_add_f16_e64 v173, v106, v109
	v_add_f16_e64 v117, v152, v117
	;; [unrolled: 1-line block ×4, first 2 shown]
	v_mul_f16_e64 v155, 0xb461, v171
	v_fma_f16 v156, v142, 0xb461, -v151
	v_add_f16_e64 v150, v37, v40
	v_mul_f16_e64 v135, 0xb836, v181
	v_sub_f16_e64 v152, v40, v37
	v_mul_f16_e64 v137, 0xbacd, v173
	v_mul_f16_e64 v153, 0x3b29, v181
	v_fma_f16 v157, 0x3bb2, v144, v155
	v_fma_f16 v158, v150, 0xbacd, -v135
	v_add_f16_e64 v113, v156, v113
	v_fma_f16 v156, 0xb836, v152, v137
	v_fma_f16 v159, v150, 0x3722, -v153
	v_mul_f16_e64 v167, 0x3722, v173
	v_sub_f16_e64 v182, v108, v107
	v_add_f16_e64 v174, v107, v108
	v_add_f16_e64 v117, v157, v117
	;; [unrolled: 1-line block ×5, first 2 shown]
	v_fma_f16 v113, 0x3b29, v152, v167
	v_add_f16_e64 v156, v36, v41
	v_sub_f16_e64 v159, v41, v36
	v_mul_f16_e64 v141, 0xb1e1, v182
	v_mul_f16_e64 v145, 0xbbdd, v174
	;; [unrolled: 1-line block ×4, first 2 shown]
	v_add_f16_e64 v184, v113, v117
	v_fma_f16 v113, v156, 0xbbdd, -v141
	v_fma_f16 v117, 0xb1e1, v159, v145
	v_fma_f16 v185, v156, 0x3b76, -v143
	v_fma_f16 v186, 0x35c8, v159, v158
	global_wb scope:SCOPE_SE
	v_add_f16_e32 v113, v113, v98
	v_add_f16_e32 v117, v117, v99
	v_add_f16_e64 v98, v185, v183
	v_add_f16_e64 v99, v186, v184
	s_barrier_signal -1
	s_barrier_wait -1
	global_inv scope:SCOPE_SE
	s_and_saveexec_b32 s1, vcc_lo
	s_cbranch_execz .LBB0_17
; %bb.16:
	v_add_f16_e32 v46, v46, v102
	v_mul_f16_e64 v183, 0x35c8, v133
	v_mul_f16_e64 v184, 0x3964, v139
	v_mul_f16_e64 v185, 0x3964, v179
	v_mul_f16_e64 v186, 0xb5c8, v144
	v_add_f16_e32 v46, v47, v46
	v_mul_f16_e64 v47, 0x3bb2, v178
	v_mul_f16_e64 v187, 0xb5c8, v180
	v_mul_f16_e64 v188, 0xbbf7, v152
	v_mul_f16_e64 v189, 0xbbf7, v181
	;; [unrolled: 5-line block ×3, first 2 shown]
	v_add_f16_e32 v42, v43, v42
	v_mul_f16_e64 v43, 0x31e1, v129
	v_mul_f16_e64 v221, 0x3bb2, v125
	v_fma_f16 v196, v123, 0xbbdd, -v195
	v_fma_f16 v214, v123, 0xbacd, -v213
	v_add_f16_e32 v42, v44, v42
	v_mul_f16_e64 v44, 0x31e1, v177
	v_fma_f16 v222, 0xb461, v149, v221
	v_mul_f16_e64 v231, 0x3bb2, v176
	v_mul_f16_e64 v239, 0x3b29, v125
	v_add_f16_e32 v42, v45, v42
	v_mul_f16_e64 v45, 0x3bb2, v129
	v_mul_f16_e64 v249, 0x3b29, v176
	v_fma_f16 v232, v123, 0xb461, -v231
	v_fma_f16 v240, 0x3722, v149, v239
	v_add_f16_e32 v40, v40, v42
	v_mul_f16_e32 v42, 0xb1e1, v125
	v_fma_f16 v250, v123, 0x3722, -v249
	v_fmac_f16_e64 v249, 0x3722, v123
	v_fmac_f16_e64 v231, 0xb461, v123
	v_add_f16_e32 v40, v41, v40
	v_mul_f16_e32 v41, 0xbbf7, v121
	v_fmac_f16_e64 v213, 0xbacd, v123
	v_fmac_f16_e64 v195, 0xbbdd, v123
	v_mov_b32_e32 v157, v70
	v_add_f16_e32 v36, v36, v40
	v_mul_f16_e64 v40, 0xba62, v176
	s_delay_alu instid0(VALU_DEP_2) | instskip(SKIP_1) | instid1(VALU_DEP_2)
	v_add_f16_e32 v36, v37, v36
	v_mul_f16_e32 v37, 0xbb29, v121
	v_add_f16_e32 v36, v38, v36
	v_mul_f16_e32 v38, 0xba62, v125
	s_delay_alu instid0(VALU_DEP_2) | instskip(SKIP_1) | instid1(VALU_DEP_2)
	v_add_f16_e32 v36, v39, v36
	v_mul_f16_e64 v39, 0xbb29, v175
	v_add_f16_e32 v34, v34, v36
	v_fma_f16 v36, 0xbbdd, v149, v42
	v_fma_f16 v42, v149, 0xbbdd, -v42
	s_delay_alu instid0(VALU_DEP_3) | instskip(SKIP_2) | instid1(VALU_DEP_3)
	v_add_f16_e32 v34, v35, v34
	v_fma_f16 v35, v123, 0xb8d2, -v40
	v_fmac_f16_e32 v40, 0xb8d2, v123
	v_add_f16_e32 v32, v32, v34
	v_fma_f16 v34, 0xb8d2, v149, v38
	v_fma_f16 v38, v149, 0xb8d2, -v38
	s_delay_alu instid0(VALU_DEP_3)
	v_add_f16_e32 v32, v33, v32
	v_fma_f16 v33, 0x3722, v147, v37
	v_fma_f16 v37, v147, 0x3722, -v37
	scratch_store_b32 off, v32, off offset:4 ; 4-byte Folded Spill
	v_add_f16_e32 v33, v112, v33
	v_add_f16_e32 v37, v112, v37
	s_delay_alu instid0(VALU_DEP_2) | instskip(SKIP_2) | instid1(VALU_DEP_4)
	v_add_f16_e32 v33, v34, v33
	v_fma_f16 v34, v119, 0x3722, -v39
	v_fmac_f16_e32 v39, 0x3722, v119
	v_add_f16_e32 v37, v38, v37
	v_fma_f16 v38, v161, 0xbbdd, -v43
	s_delay_alu instid0(VALU_DEP_4) | instskip(NEXT) | instid1(VALU_DEP_4)
	v_add_f16_e32 v34, v102, v34
	v_add_f16_e32 v39, v102, v39
	s_delay_alu instid0(VALU_DEP_3) | instskip(SKIP_1) | instid1(VALU_DEP_4)
	v_add_f16_e32 v37, v38, v37
	v_fma_f16 v38, v166, 0xb461, -v46
	v_add_f16_e32 v34, v35, v34
	v_fma_f16 v35, 0x2de8, v147, v41
	v_add_f16_e32 v39, v40, v39
	v_fma_f16 v41, v147, 0x2de8, -v41
	v_add_f16_e32 v37, v38, v37
	v_fma_f16 v38, v169, 0x39e9, -v184
	v_add_f16_e32 v35, v112, v35
	s_delay_alu instid0(VALU_DEP_4) | instskip(NEXT) | instid1(VALU_DEP_3)
	v_add_f16_e32 v41, v112, v41
	v_add_f16_e32 v37, v38, v37
	s_delay_alu instid0(VALU_DEP_3) | instskip(SKIP_1) | instid1(VALU_DEP_4)
	v_add_f16_e32 v35, v36, v35
	v_fma_f16 v36, 0xbbdd, v161, v43
	v_add_f16_e32 v41, v42, v41
	v_fma_f16 v38, v171, 0x3b76, -v186
	s_delay_alu instid0(VALU_DEP_3) | instskip(SKIP_2) | instid1(VALU_DEP_4)
	v_add_f16_e32 v33, v36, v33
	v_fma_f16 v36, v127, 0xbbdd, -v44
	v_fmac_f16_e32 v44, 0xbbdd, v127
	v_add_f16_e32 v37, v38, v37
	v_fma_f16 v38, v173, 0x2de8, -v188
	s_delay_alu instid0(VALU_DEP_4)
	v_add_f16_e32 v34, v36, v34
	v_fma_f16 v36, 0xb461, v161, v45
	v_add_f16_e32 v39, v44, v39
	v_mul_f16_e32 v44, 0xbbf7, v125
	v_fma_f16 v45, v161, 0xb461, -v45
	v_add_f16_e32 v37, v38, v37
	v_add_f16_e32 v35, v36, v35
	v_fma_f16 v36, 0xb461, v166, v46
	v_fma_f16 v38, v174, 0xbacd, -v190
	v_add_f16_e32 v41, v45, v41
	s_delay_alu instid0(VALU_DEP_3) | instskip(SKIP_1) | instid1(VALU_DEP_4)
	v_add_f16_e32 v33, v36, v33
	v_fma_f16 v36, v131, 0xb461, -v47
	v_add_f16_e32 v37, v38, v37
	v_mul_f16_e32 v38, 0x39e9, v119
	v_fmac_f16_e64 v47, 0xb461, v131
	s_delay_alu instid0(VALU_DEP_4) | instskip(SKIP_1) | instid1(VALU_DEP_4)
	v_add_f16_e32 v34, v36, v34
	v_fma_f16 v36, 0x3b76, v166, v183
	v_add_f16_e64 v38, v38, v157
	s_delay_alu instid0(VALU_DEP_4) | instskip(SKIP_1) | instid1(VALU_DEP_4)
	v_add_f16_e32 v39, v47, v39
	v_add_f16_e32 v47, v118, v112
	v_add_f16_e32 v35, v36, v35
	v_fma_f16 v36, 0x39e9, v169, v184
	v_add_f16_e32 v38, v102, v38
	s_delay_alu instid0(VALU_DEP_4) | instskip(NEXT) | instid1(VALU_DEP_3)
	v_add_f16_e32 v47, v116, v47
	v_add_f16_e32 v33, v36, v33
	v_fma_f16 v36, v136, 0x39e9, -v185
	v_fmac_f16_e64 v185, 0x39e9, v136
	s_delay_alu instid0(VALU_DEP_2) | instskip(SKIP_1) | instid1(VALU_DEP_3)
	v_add_f16_e32 v34, v36, v34
	v_fma_f16 v36, 0x3b76, v171, v186
	v_add_f16_e64 v39, v185, v39
	s_delay_alu instid0(VALU_DEP_2) | instskip(SKIP_2) | instid1(VALU_DEP_2)
	v_add_f16_e32 v33, v36, v33
	v_fma_f16 v36, v142, 0x3b76, -v187
	v_fmac_f16_e64 v187, 0x3b76, v142
	v_add_f16_e32 v34, v36, v34
	v_fma_f16 v36, 0x2de8, v173, v188
	s_delay_alu instid0(VALU_DEP_3) | instskip(NEXT) | instid1(VALU_DEP_2)
	v_add_f16_e64 v39, v187, v39
	v_add_f16_e32 v33, v36, v33
	v_fma_f16 v36, v150, 0x2de8, -v189
	v_fmac_f16_e64 v189, 0x2de8, v150
	s_delay_alu instid0(VALU_DEP_2) | instskip(SKIP_1) | instid1(VALU_DEP_3)
	v_add_f16_e32 v34, v36, v34
	v_fma_f16 v36, 0xbacd, v174, v190
	v_add_f16_e64 v39, v189, v39
	s_delay_alu instid0(VALU_DEP_2)
	v_add_f16_e32 v32, v36, v33
	v_mul_f16_e64 v36, 0xb836, v182
	v_mov_b32_e32 v33, v143
	v_mov_b32_e32 v143, v50
	v_mul_f16_e32 v50, 0x35c8, v125
	scratch_store_b32 off, v32, off offset:8 ; 4-byte Folded Spill
	v_fma_f16 v191, v156, 0xbacd, -v36
	v_fmac_f16_e64 v36, 0xbacd, v156
	v_fma_f16 v54, 0x3b76, v149, v50
	v_fma_f16 v50, v149, 0x3b76, -v50
	s_delay_alu instid0(VALU_DEP_4)
	v_add_f16_e64 v32, v191, v34
	v_mul_f16_e64 v191, 0xbb29, v139
	v_dual_mov_b32 v34, v51 :: v_dual_mov_b32 v51, v60
	v_mov_b32_e32 v60, v58
	scratch_store_b32 off, v32, off offset:12 ; 4-byte Folded Spill
	v_fma_f16 v192, 0x3722, v169, v191
	v_dual_mov_b32 v58, v57 :: v_dual_mov_b32 v57, v96
	v_dual_mov_b32 v96, v93 :: v_dual_mov_b32 v93, v89
	s_delay_alu instid0(VALU_DEP_3) | instskip(SKIP_4) | instid1(VALU_DEP_4)
	v_add_f16_e64 v35, v192, v35
	v_mul_f16_e64 v192, 0xb836, v144
	v_mov_b32_e32 v89, v85
	v_mov_b32_e32 v85, v79
	v_dual_mov_b32 v79, v72 :: v_dual_mov_b32 v72, v48
	v_fma_f16 v193, 0xbacd, v171, v192
	v_fma_f16 v43, v171, 0xbacd, -v192
	v_add_f16_e32 v36, v36, v39
	s_delay_alu instid0(VALU_DEP_3) | instskip(SKIP_1) | instid1(VALU_DEP_3)
	v_add_f16_e64 v35, v193, v35
	v_mul_f16_e64 v193, 0xbbf7, v175
	v_pack_b32_f16 v36, v36, v37
	s_delay_alu instid0(VALU_DEP_2) | instskip(SKIP_1) | instid1(VALU_DEP_2)
	v_fma_f16 v194, v119, 0x2de8, -v193
	v_fmac_f16_e64 v193, 0x2de8, v119
	v_add_f16_e64 v194, v102, v194
	s_delay_alu instid0(VALU_DEP_1) | instskip(SKIP_1) | instid1(VALU_DEP_1)
	v_add_f16_e64 v194, v196, v194
	v_mul_f16_e64 v196, 0x3a62, v152
	v_fma_f16 v197, 0xb8d2, v173, v196
	v_fma_f16 v46, v173, 0xb8d2, -v196
	s_delay_alu instid0(VALU_DEP_2) | instskip(SKIP_1) | instid1(VALU_DEP_1)
	v_add_f16_e64 v35, v197, v35
	v_mul_f16_e64 v197, 0x3bb2, v177
	v_fma_f16 v198, v127, 0xb461, -v197
	v_fmac_f16_e64 v197, 0xb461, v127
	s_delay_alu instid0(VALU_DEP_2) | instskip(SKIP_1) | instid1(VALU_DEP_1)
	v_add_f16_e64 v194, v198, v194
	v_mul_f16_e64 v198, 0x3964, v159
	v_fma_f16 v199, 0x39e9, v174, v198
	s_delay_alu instid0(VALU_DEP_1)
	v_add_f16_e64 v32, v199, v35
	v_mul_f16_e64 v199, 0x35c8, v178
	v_dual_mov_b32 v35, v134 :: v_dual_mov_b32 v134, v86
	v_mov_b32_e32 v86, v81
	scratch_store_b32 off, v32, off offset:16 ; 4-byte Folded Spill
	v_fma_f16 v200, v131, 0x3b76, -v199
	s_clause 0x3
	scratch_store_b32 off, v160, off offset:44
	scratch_store_b32 off, v202, off
	scratch_store_b32 off, v128, off offset:28
	scratch_store_b32 off, v137, off offset:32
	v_mov_b32_e32 v128, v203
	v_add_f16_e64 v194, v200, v194
	v_mul_f16_e64 v200, 0xbb29, v179
	v_mul_f16_e64 v203, 0x3836, v125
	scratch_store_b32 off, v135, off offset:24 ; 4-byte Folded Spill
	v_dual_mov_b32 v135, v88 :: v_dual_mov_b32 v88, v82
	v_fma_f16 v201, v136, 0x3722, -v200
	v_dual_mov_b32 v82, v77 :: v_dual_mov_b32 v77, v71
	v_mov_b32_e32 v71, v204
	v_fma_f16 v204, 0xbacd, v149, v203
	s_delay_alu instid0(VALU_DEP_4)
	v_add_f16_e64 v194, v201, v194
	v_mul_f16_e64 v201, 0xbbb2, v121
	s_clause 0x1
	scratch_store_b32 off, v140, off offset:40
	scratch_store_b32 off, v132, off offset:48
	v_dual_mov_b32 v140, v87 :: v_dual_mov_b32 v87, v83
	v_fma_f16 v202, 0xb461, v147, v201
	v_dual_mov_b32 v83, v80 :: v_dual_mov_b32 v80, v73
	v_mov_b32_e32 v73, v205
	scratch_store_b32 off, v130, off offset:36 ; 4-byte Folded Spill
	v_add_f16_e64 v202, v112, v202
	v_dual_mov_b32 v130, v206 :: v_dual_mov_b32 v137, v84
	v_mov_b32_e32 v84, v78
	v_mov_b32_e32 v78, v74
	s_delay_alu instid0(VALU_DEP_4) | instskip(SKIP_3) | instid1(VALU_DEP_3)
	v_add_f16_e64 v202, v204, v202
	v_mul_f16_e64 v204, 0xb836, v180
	v_dual_mov_b32 v74, v207 :: v_dual_mov_b32 v81, v75
	v_dual_mov_b32 v75, v208 :: v_dual_mov_b32 v132, v76
	v_fma_f16 v205, v142, 0xbacd, -v204
	v_mov_b32_e32 v76, v209
	v_sub_f16_e32 v44, v35, v44
	scratch_load_b32 v35, off, off offset:44 th:TH_LOAD_LU ; 4-byte Folded Reload
	v_mov_b32_e32 v160, v122
	v_add_f16_e64 v194, v205, v194
	v_mul_f16_e64 v205, 0x3964, v129
	v_fmac_f16_e64 v199, 0x3b76, v131
	v_fmac_f16_e64 v200, 0x3722, v136
	;; [unrolled: 1-line block ×3, first 2 shown]
	s_delay_alu instid0(VALU_DEP_4) | instskip(NEXT) | instid1(VALU_DEP_1)
	v_fma_f16 v206, 0x39e9, v161, v205
	v_add_f16_e64 v202, v206, v202
	v_mul_f16_e64 v206, 0x3a62, v181
	s_delay_alu instid0(VALU_DEP_1) | instskip(SKIP_1) | instid1(VALU_DEP_2)
	v_fma_f16 v207, v150, 0xb8d2, -v206
	v_fmac_f16_e64 v206, 0xb8d2, v150
	v_add_f16_e64 v194, v207, v194
	v_mul_f16_e64 v207, 0xbb29, v133
	s_delay_alu instid0(VALU_DEP_1) | instskip(NEXT) | instid1(VALU_DEP_1)
	v_fma_f16 v208, 0x3722, v166, v207
	v_add_f16_e64 v202, v208, v202
	v_mul_f16_e64 v208, 0x3964, v182
	s_delay_alu instid0(VALU_DEP_1) | instskip(SKIP_1) | instid1(VALU_DEP_2)
	v_fma_f16 v209, v156, 0x39e9, -v208
	v_fmac_f16_e64 v208, 0x39e9, v156
	v_add_f16_e64 v32, v209, v194
	v_mul_f16_e64 v209, 0xb1e1, v139
	v_mov_b32_e32 v194, v138
	v_mov_b32_e32 v138, v210
	scratch_store_b32 off, v32, off offset:20 ; 4-byte Folded Spill
	v_fma_f16 v210, 0xbbdd, v169, v209
	v_dual_mov_b32 v32, v117 :: v_dual_mov_b32 v117, v145
	v_mov_b32_e32 v145, v52
	s_delay_alu instid0(VALU_DEP_3) | instskip(SKIP_1) | instid1(VALU_DEP_1)
	v_add_f16_e64 v202, v210, v202
	v_mul_f16_e64 v210, 0x3bf7, v144
	v_fma_f16 v211, 0x2de8, v171, v210
	s_delay_alu instid0(VALU_DEP_1) | instskip(SKIP_1) | instid1(VALU_DEP_1)
	v_add_f16_e64 v202, v211, v202
	v_mul_f16_e64 v211, 0xbbb2, v175
	v_fma_f16 v212, v119, 0xb461, -v211
	v_fmac_f16_e64 v211, 0xb461, v119
	s_delay_alu instid0(VALU_DEP_2) | instskip(NEXT) | instid1(VALU_DEP_1)
	v_add_f16_e64 v212, v102, v212
	v_add_f16_e64 v212, v214, v212
	v_mul_f16_e64 v214, 0xb5c8, v152
	s_delay_alu instid0(VALU_DEP_1) | instskip(NEXT) | instid1(VALU_DEP_1)
	v_fma_f16 v215, 0x3b76, v173, v214
	v_add_f16_e64 v202, v215, v202
	v_mul_f16_e64 v215, 0x3964, v177
	s_delay_alu instid0(VALU_DEP_1) | instskip(SKIP_1) | instid1(VALU_DEP_2)
	v_fma_f16 v216, v127, 0x39e9, -v215
	v_fmac_f16_e64 v215, 0x39e9, v127
	v_add_f16_e64 v212, v216, v212
	v_mul_f16_e64 v216, 0xba62, v159
	s_delay_alu instid0(VALU_DEP_1) | instskip(SKIP_1) | instid1(VALU_DEP_2)
	v_fma_f16 v217, 0xb8d2, v174, v216
	v_fma_f16 v42, v174, 0xb8d2, -v216
	v_add_f16_e64 v202, v217, v202
	v_mul_f16_e64 v217, 0xbb29, v178
	s_delay_alu instid0(VALU_DEP_1) | instskip(SKIP_1) | instid1(VALU_DEP_2)
	v_fma_f16 v218, v131, 0x3722, -v217
	v_fmac_f16_e64 v217, 0x3722, v131
	v_add_f16_e64 v212, v218, v212
	v_mul_f16_e64 v218, 0xb1e1, v179
	s_delay_alu instid0(VALU_DEP_1) | instskip(SKIP_1) | instid1(VALU_DEP_2)
	v_fma_f16 v219, v136, 0xbbdd, -v218
	v_fmac_f16_e64 v218, 0xbbdd, v136
	v_add_f16_e64 v212, v219, v212
	v_mul_f16_e64 v219, 0xba62, v121
	s_delay_alu instid0(VALU_DEP_1) | instskip(NEXT) | instid1(VALU_DEP_1)
	v_fma_f16 v220, 0xb8d2, v147, v219
	v_add_f16_e64 v220, v112, v220
	s_delay_alu instid0(VALU_DEP_1) | instskip(SKIP_1) | instid1(VALU_DEP_1)
	v_add_f16_e64 v220, v222, v220
	v_mul_f16_e64 v222, 0x3bf7, v180
	v_fma_f16 v223, v142, 0x2de8, -v222
	v_fmac_f16_e64 v222, 0x2de8, v142
	s_delay_alu instid0(VALU_DEP_2) | instskip(SKIP_1) | instid1(VALU_DEP_1)
	v_add_f16_e64 v212, v223, v212
	v_mul_f16_e64 v223, 0xb5c8, v129
	v_fma_f16 v224, 0x3b76, v161, v223
	s_delay_alu instid0(VALU_DEP_1) | instskip(SKIP_1) | instid1(VALU_DEP_1)
	v_add_f16_e64 v220, v224, v220
	v_mul_f16_e64 v224, 0xb5c8, v181
	v_fma_f16 v225, v150, 0x3b76, -v224
	v_fmac_f16_e64 v224, 0x3b76, v150
	s_delay_alu instid0(VALU_DEP_2) | instskip(SKIP_1) | instid1(VALU_DEP_1)
	v_add_f16_e64 v212, v225, v212
	v_mul_f16_e64 v225, 0xb836, v133
	v_fma_f16 v226, 0xbacd, v166, v225
	s_delay_alu instid0(VALU_DEP_1) | instskip(SKIP_1) | instid1(VALU_DEP_1)
	v_add_f16_e64 v220, v226, v220
	v_mul_f16_e64 v226, 0xba62, v182
	v_fma_f16 v227, v156, 0xb8d2, -v226
	v_fmac_f16_e64 v226, 0xb8d2, v156
	s_delay_alu instid0(VALU_DEP_2) | instskip(SKIP_1) | instid1(VALU_DEP_1)
	v_add_f16_e64 v212, v227, v212
	v_mul_f16_e64 v227, 0x3bf7, v139
	v_fma_f16 v228, 0x2de8, v169, v227
	s_delay_alu instid0(VALU_DEP_1) | instskip(SKIP_1) | instid1(VALU_DEP_1)
	v_add_f16_e64 v220, v228, v220
	v_mul_f16_e64 v228, 0xb964, v144
	v_fma_f16 v229, 0x39e9, v171, v228
	s_delay_alu instid0(VALU_DEP_1) | instskip(SKIP_1) | instid1(VALU_DEP_1)
	v_add_f16_e64 v220, v229, v220
	v_mul_f16_e64 v229, 0xba62, v175
	v_fma_f16 v230, v119, 0xb8d2, -v229
	v_fmac_f16_e64 v229, 0xb8d2, v119
	s_delay_alu instid0(VALU_DEP_2) | instskip(NEXT) | instid1(VALU_DEP_1)
	v_add_f16_e64 v230, v102, v230
	v_add_f16_e64 v230, v232, v230
	v_mul_f16_e64 v232, 0xb1e1, v152
	s_delay_alu instid0(VALU_DEP_1) | instskip(NEXT) | instid1(VALU_DEP_1)
	v_fma_f16 v233, 0xbbdd, v173, v232
	v_add_f16_e64 v220, v233, v220
	v_mul_f16_e64 v233, 0xb5c8, v177
	s_delay_alu instid0(VALU_DEP_1) | instskip(SKIP_1) | instid1(VALU_DEP_2)
	v_fma_f16 v234, v127, 0x3b76, -v233
	v_fmac_f16_e64 v233, 0x3b76, v127
	v_add_f16_e64 v230, v234, v230
	v_mul_f16_e64 v234, 0x3b29, v159
	s_delay_alu instid0(VALU_DEP_1) | instskip(NEXT) | instid1(VALU_DEP_1)
	v_fma_f16 v235, 0x3722, v174, v234
	v_add_f16_e64 v220, v235, v220
	v_mul_f16_e64 v235, 0xb836, v178
	s_delay_alu instid0(VALU_DEP_1) | instskip(SKIP_1) | instid1(VALU_DEP_2)
	v_fma_f16 v236, v131, 0xbacd, -v235
	v_fmac_f16_e64 v235, 0xbacd, v131
	v_add_f16_e64 v230, v236, v230
	v_mul_f16_e64 v236, 0x3bf7, v179
	s_delay_alu instid0(VALU_DEP_1) | instskip(SKIP_1) | instid1(VALU_DEP_2)
	v_fma_f16 v237, v136, 0x2de8, -v236
	v_fmac_f16_e64 v236, 0x2de8, v136
	v_add_f16_e64 v230, v237, v230
	v_mul_f16_e64 v237, 0xb836, v121
	s_delay_alu instid0(VALU_DEP_1) | instskip(NEXT) | instid1(VALU_DEP_1)
	v_fma_f16 v238, 0xbacd, v147, v237
	v_add_f16_e64 v238, v112, v238
	s_delay_alu instid0(VALU_DEP_1) | instskip(SKIP_1) | instid1(VALU_DEP_1)
	v_add_f16_e64 v238, v240, v238
	v_mul_f16_e64 v240, 0xb964, v180
	v_fma_f16 v241, v142, 0x39e9, -v240
	v_fmac_f16_e64 v240, 0x39e9, v142
	s_delay_alu instid0(VALU_DEP_2) | instskip(SKIP_1) | instid1(VALU_DEP_1)
	v_add_f16_e64 v230, v241, v230
	v_mul_f16_e64 v241, 0xbbf7, v129
	v_fma_f16 v242, 0x2de8, v161, v241
	s_delay_alu instid0(VALU_DEP_1) | instskip(SKIP_1) | instid1(VALU_DEP_1)
	v_add_f16_e64 v238, v242, v238
	v_mul_f16_e64 v242, 0xb1e1, v181
	v_fma_f16 v243, v150, 0xbbdd, -v242
	v_fmac_f16_e64 v242, 0xbbdd, v150
	s_delay_alu instid0(VALU_DEP_2) | instskip(SKIP_1) | instid1(VALU_DEP_1)
	v_add_f16_e64 v230, v243, v230
	v_mul_f16_e64 v243, 0x3a62, v133
	v_fma_f16 v244, 0xb8d2, v166, v243
	;; [unrolled: 9-line block ×3, first 2 shown]
	s_delay_alu instid0(VALU_DEP_1) | instskip(SKIP_1) | instid1(VALU_DEP_1)
	v_add_f16_e64 v238, v246, v238
	v_mul_f16_e64 v246, 0xb1e1, v144
	v_fma_f16 v247, 0xbbdd, v171, v246
	s_delay_alu instid0(VALU_DEP_1) | instskip(SKIP_1) | instid1(VALU_DEP_1)
	v_add_f16_e64 v238, v247, v238
	v_mul_f16_e64 v247, 0xb836, v175
	v_fma_f16 v248, v119, 0xbacd, -v247
	v_fmac_f16_e64 v247, 0xbacd, v119
	s_delay_alu instid0(VALU_DEP_2) | instskip(NEXT) | instid1(VALU_DEP_1)
	v_add_f16_e64 v248, v102, v248
	v_add_f16_e64 v248, v250, v248
	v_mul_f16_e64 v250, 0x3964, v152
	s_delay_alu instid0(VALU_DEP_1) | instskip(NEXT) | instid1(VALU_DEP_1)
	v_fma_f16 v251, 0x39e9, v173, v250
	v_add_f16_e64 v238, v251, v238
	v_mul_f16_e64 v251, 0xbbf7, v177
	s_delay_alu instid0(VALU_DEP_1) | instskip(SKIP_1) | instid1(VALU_DEP_2)
	v_fma_f16 v252, v127, 0x2de8, -v251
	v_fmac_f16_e64 v251, 0x2de8, v127
	v_add_f16_e64 v248, v252, v248
	v_mul_f16_e64 v252, 0xbbb2, v159
	s_delay_alu instid0(VALU_DEP_1) | instskip(NEXT) | instid1(VALU_DEP_1)
	v_fma_f16 v253, 0xb461, v174, v252
	v_add_f16_e64 v238, v253, v238
	v_mul_f16_e64 v253, 0x3a62, v178
	s_delay_alu instid0(VALU_DEP_1) | instskip(SKIP_1) | instid1(VALU_DEP_2)
	v_fma_f16 v254, v131, 0xb8d2, -v253
	v_fmac_f16_e64 v253, 0xb8d2, v131
	v_add_f16_e64 v248, v254, v248
	v_mul_f16_e64 v254, 0xb5c8, v179
	s_delay_alu instid0(VALU_DEP_1) | instskip(SKIP_1) | instid1(VALU_DEP_2)
	v_fma_f16 v255, v136, 0x3b76, -v254
	v_fmac_f16_e64 v254, 0x3b76, v136
	v_add_f16_e64 v248, v255, v248
	v_mul_f16_e64 v255, 0xb1e1, v121
	s_delay_alu instid0(VALU_DEP_1) | instskip(NEXT) | instid1(VALU_DEP_1)
	v_fma_f16 v48, 0xbbdd, v147, v255
	v_add_f16_e32 v48, v112, v48
	s_delay_alu instid0(VALU_DEP_1) | instskip(SKIP_1) | instid1(VALU_DEP_1)
	v_add_f16_e32 v48, v54, v48
	v_mul_f16_e64 v54, 0xb1e1, v180
	v_fma_f16 v56, v142, 0xbbdd, -v54
	v_fmac_f16_e64 v54, 0xbbdd, v142
	s_delay_alu instid0(VALU_DEP_2) | instskip(SKIP_1) | instid1(VALU_DEP_1)
	v_add_f16_e64 v56, v56, v248
	v_mul_f16_e64 v248, 0xb836, v129
	v_fma_f16 v52, 0xbacd, v161, v248
	s_delay_alu instid0(VALU_DEP_1) | instskip(SKIP_1) | instid1(VALU_DEP_1)
	v_add_f16_e32 v48, v52, v48
	v_mul_f16_e64 v52, 0x3964, v181
	v_fma_f16 v59, v150, 0x39e9, -v52
	v_fmac_f16_e64 v52, 0x39e9, v150
	s_delay_alu instid0(VALU_DEP_2) | instskip(SKIP_1) | instid1(VALU_DEP_1)
	v_add_f16_e32 v56, v59, v56
	v_mul_f16_e64 v59, 0x3964, v133
	v_fma_f16 v61, 0x39e9, v166, v59
	v_fma_f16 v59, v166, 0x39e9, -v59
	s_delay_alu instid0(VALU_DEP_2) | instskip(SKIP_1) | instid1(VALU_DEP_1)
	v_add_f16_e32 v48, v61, v48
	v_mul_f16_e64 v61, 0xbbb2, v182
	v_fma_f16 v62, v156, 0xb461, -v61
	v_fmac_f16_e64 v61, 0xb461, v156
	s_delay_alu instid0(VALU_DEP_2) | instskip(SKIP_1) | instid1(VALU_DEP_1)
	v_add_f16_e32 v56, v62, v56
	v_mul_f16_e64 v62, 0xba62, v139
	v_fma_f16 v63, 0xb8d2, v169, v62
	v_fma_f16 v62, v169, 0xb8d2, -v62
	s_delay_alu instid0(VALU_DEP_2) | instskip(SKIP_1) | instid1(VALU_DEP_1)
	v_add_f16_e32 v48, v63, v48
	v_mul_f16_e64 v63, 0x3b29, v144
	v_fma_f16 v120, 0x3722, v171, v63
	s_delay_alu instid0(VALU_DEP_1) | instskip(SKIP_2) | instid1(VALU_DEP_2)
	v_add_f16_e32 v48, v120, v48
	v_mul_f16_e64 v120, 0xb1e1, v175
	v_mul_f16_e64 v175, 0x35c8, v176
	v_fma_f16 v176, v119, 0xbbdd, -v120
	s_delay_alu instid0(VALU_DEP_2) | instskip(SKIP_2) | instid1(VALU_DEP_4)
	v_fma_f16 v122, v123, 0x3b76, -v175
	v_fmac_f16_e32 v120, 0xbbdd, v119
	v_fmac_f16_e64 v175, 0x3b76, v123
	v_add_f16_e64 v176, v102, v176
	s_delay_alu instid0(VALU_DEP_1) | instskip(SKIP_1) | instid1(VALU_DEP_1)
	v_add_f16_e64 v122, v122, v176
	v_mul_f16_e64 v176, 0xbbb2, v152
	v_fma_f16 v124, 0xb461, v173, v176
	s_delay_alu instid0(VALU_DEP_1) | instskip(SKIP_1) | instid1(VALU_DEP_1)
	v_add_f16_e32 v48, v124, v48
	v_mul_f16_e64 v124, 0xb836, v177
	v_fma_f16 v177, v127, 0xbacd, -v124
	v_fmac_f16_e32 v124, 0xbacd, v127
	s_delay_alu instid0(VALU_DEP_2) | instskip(SKIP_1) | instid1(VALU_DEP_1)
	v_add_f16_e64 v122, v177, v122
	v_mul_f16_e64 v177, 0x3bf7, v159
	v_fma_f16 v70, 0x2de8, v174, v177
	s_delay_alu instid0(VALU_DEP_1) | instskip(SKIP_1) | instid1(VALU_DEP_1)
	v_add_f16_e32 v48, v70, v48
	v_mul_f16_e64 v70, 0x3964, v178
	v_fma_f16 v178, v131, 0x39e9, -v70
	v_fmac_f16_e64 v70, 0x39e9, v131
	s_delay_alu instid0(VALU_DEP_2) | instskip(SKIP_1) | instid1(VALU_DEP_1)
	v_add_f16_e64 v122, v178, v122
	v_mul_f16_e64 v178, 0xba62, v179
	v_fma_f16 v179, v136, 0xb8d2, -v178
	v_fmac_f16_e64 v178, 0xb8d2, v136
	s_delay_alu instid0(VALU_DEP_2) | instskip(SKIP_1) | instid1(VALU_DEP_1)
	v_add_f16_e64 v122, v179, v122
	v_fma_f16 v179, v147, 0xbbdd, -v255
	v_add_f16_e64 v179, v112, v179
	s_delay_alu instid0(VALU_DEP_1) | instskip(SKIP_1) | instid1(VALU_DEP_1)
	v_add_f16_e64 v50, v50, v179
	v_mul_f16_e64 v179, 0x3b29, v180
	v_fma_f16 v180, v142, 0x3722, -v179
	v_fmac_f16_e64 v179, 0x3722, v142
	s_delay_alu instid0(VALU_DEP_2) | instskip(SKIP_1) | instid1(VALU_DEP_1)
	v_add_f16_e64 v122, v180, v122
	v_fma_f16 v180, v161, 0xbacd, -v248
	v_add_f16_e64 v50, v180, v50
	v_mul_f16_e64 v180, 0xbbb2, v181
	s_delay_alu instid0(VALU_DEP_2) | instskip(NEXT) | instid1(VALU_DEP_2)
	v_add_f16_e32 v50, v59, v50
	v_fma_f16 v181, v150, 0xb461, -v180
	v_mul_f16_e64 v59, 0x3bf7, v182
	v_fmac_f16_e64 v180, 0xb461, v150
	s_delay_alu instid0(VALU_DEP_4)
	v_add_f16_e32 v50, v62, v50
	v_fma_f16 v62, v171, 0x3722, -v63
	v_fma_f16 v63, v173, 0xb461, -v176
	v_add_f16_e64 v122, v181, v122
	v_fma_f16 v181, v156, 0x2de8, -v59
	v_fmac_f16_e64 v59, 0x2de8, v156
	v_add_f16_e32 v50, v62, v50
	v_add_f16_e32 v62, v102, v120
	v_fma_f16 v120, v169, 0x3b76, -v245
	v_add_f16_e64 v122, v181, v122
	s_delay_alu instid0(VALU_DEP_4) | instskip(NEXT) | instid1(VALU_DEP_4)
	v_add_f16_e32 v50, v63, v50
	v_add_f16_e64 v62, v175, v62
	v_fma_f16 v63, v174, 0x2de8, -v177
	s_delay_alu instid0(VALU_DEP_2) | instskip(NEXT) | instid1(VALU_DEP_2)
	v_add_f16_e32 v62, v124, v62
	v_add_f16_e32 v50, v63, v50
	v_fma_f16 v63, v147, 0xbacd, -v237
	v_fma_f16 v124, v149, 0xb461, -v221
	s_delay_alu instid0(VALU_DEP_4) | instskip(SKIP_1) | instid1(VALU_DEP_4)
	v_add_f16_e32 v62, v70, v62
	v_fma_f16 v70, v149, 0x3722, -v239
	v_add_f16_e32 v63, v112, v63
	s_delay_alu instid0(VALU_DEP_3) | instskip(NEXT) | instid1(VALU_DEP_2)
	v_add_f16_e64 v62, v178, v62
	v_add_f16_e32 v63, v70, v63
	v_fma_f16 v70, v161, 0x2de8, -v241
	s_delay_alu instid0(VALU_DEP_3) | instskip(NEXT) | instid1(VALU_DEP_2)
	v_add_f16_e64 v62, v179, v62
	v_add_f16_e32 v63, v70, v63
	v_fma_f16 v70, v166, 0xb8d2, -v243
	s_delay_alu instid0(VALU_DEP_3) | instskip(NEXT) | instid1(VALU_DEP_2)
	v_add_f16_e64 v62, v180, v62
	v_add_f16_e32 v63, v70, v63
	v_add_f16_e64 v70, v102, v247
	s_delay_alu instid0(VALU_DEP_2) | instskip(SKIP_1) | instid1(VALU_DEP_3)
	v_add_f16_e32 v63, v120, v63
	v_fma_f16 v120, v147, 0xb8d2, -v219
	v_add_f16_e64 v70, v249, v70
	s_delay_alu instid0(VALU_DEP_2) | instskip(NEXT) | instid1(VALU_DEP_2)
	v_add_f16_e32 v120, v112, v120
	v_add_f16_e64 v70, v251, v70
	s_delay_alu instid0(VALU_DEP_2) | instskip(SKIP_1) | instid1(VALU_DEP_3)
	v_add_f16_e32 v120, v124, v120
	v_fma_f16 v124, v171, 0xbbdd, -v246
	v_add_f16_e64 v70, v253, v70
	s_delay_alu instid0(VALU_DEP_2) | instskip(SKIP_1) | instid1(VALU_DEP_3)
	v_add_f16_e32 v63, v124, v63
	v_fma_f16 v124, v161, 0x3b76, -v223
	;; [unrolled: 4-line block ×3, first 2 shown]
	v_add_f16_e32 v54, v54, v70
	v_fma_f16 v70, v169, 0x2de8, -v227
	s_delay_alu instid0(VALU_DEP_3) | instskip(SKIP_1) | instid1(VALU_DEP_4)
	v_add_f16_e32 v63, v124, v63
	v_fma_f16 v124, v166, 0xbacd, -v225
	v_add_f16_e32 v52, v52, v54
	v_fma_f16 v54, v171, 0x39e9, -v228
	s_delay_alu instid0(VALU_DEP_3) | instskip(NEXT) | instid1(VALU_DEP_3)
	v_add_f16_e32 v120, v124, v120
	v_add_f16_e32 v52, v61, v52
	v_fma_f16 v61, v173, 0xbbdd, -v232
	v_fma_f16 v124, v174, 0xb461, -v252
	s_delay_alu instid0(VALU_DEP_4) | instskip(SKIP_2) | instid1(VALU_DEP_4)
	v_add_f16_e32 v70, v70, v120
	v_fma_f16 v120, v149, 0xbacd, -v203
	v_mov_b32_e32 v203, v128
	v_add_f16_e32 v63, v124, v63
	v_fma_f16 v124, v166, 0x3722, -v207
	v_add_f16_e32 v54, v54, v70
	v_add_f16_e64 v70, v102, v229
	v_dual_mov_b32 v207, v74 :: v_dual_mov_b32 v74, v78
	v_mov_b32_e32 v78, v84
	s_delay_alu instid0(VALU_DEP_4) | instskip(NEXT) | instid1(VALU_DEP_4)
	v_add_f16_e32 v54, v61, v54
	v_add_f16_e64 v70, v231, v70
	v_mov_b32_e32 v84, v137
	s_delay_alu instid0(VALU_DEP_2) | instskip(SKIP_1) | instid1(VALU_DEP_2)
	v_add_f16_e64 v61, v233, v70
	v_fma_f16 v70, v174, 0x3722, -v234
	v_add_f16_e64 v61, v235, v61
	s_delay_alu instid0(VALU_DEP_2) | instskip(SKIP_1) | instid1(VALU_DEP_3)
	v_add_f16_e32 v54, v70, v54
	v_fma_f16 v70, v147, 0xb461, -v201
	v_add_f16_e64 v61, v236, v61
	s_delay_alu instid0(VALU_DEP_2) | instskip(NEXT) | instid1(VALU_DEP_2)
	v_add_f16_e32 v70, v112, v70
	v_add_f16_e64 v61, v240, v61
	s_delay_alu instid0(VALU_DEP_2) | instskip(SKIP_2) | instid1(VALU_DEP_4)
	v_add_f16_e32 v70, v120, v70
	v_fma_f16 v120, v161, 0x39e9, -v205
	v_mov_b32_e32 v205, v73
	v_add_f16_e64 v61, v242, v61
	v_dual_mov_b32 v73, v80 :: v_dual_mov_b32 v80, v83
	s_delay_alu instid0(VALU_DEP_4) | instskip(SKIP_1) | instid1(VALU_DEP_4)
	v_add_f16_e32 v70, v120, v70
	v_add_f16_e64 v120, v102, v211
	v_add_f16_e64 v61, v244, v61
	v_mov_b32_e32 v83, v87
	v_mov_b32_e32 v87, v140
	v_add_f16_e32 v70, v124, v70
	v_add_f16_e64 v120, v213, v120
	v_fma_f16 v124, v169, 0xbbdd, -v209
	v_dual_mov_b32 v209, v76 :: v_dual_mov_b32 v76, v132
	s_delay_alu instid0(VALU_DEP_3) | instskip(NEXT) | instid1(VALU_DEP_3)
	v_add_f16_e64 v120, v215, v120
	v_add_f16_e32 v70, v124, v70
	v_fma_f16 v124, v171, 0x2de8, -v210
	v_mov_b32_e32 v210, v138
	s_delay_alu instid0(VALU_DEP_4) | instskip(NEXT) | instid1(VALU_DEP_3)
	v_add_f16_e64 v120, v217, v120
	v_add_f16_e32 v70, v124, v70
	v_fma_f16 v124, v173, 0x3b76, -v214
	s_delay_alu instid0(VALU_DEP_3) | instskip(NEXT) | instid1(VALU_DEP_2)
	v_add_f16_e64 v120, v218, v120
	v_add_f16_e32 v70, v124, v70
	s_delay_alu instid0(VALU_DEP_2) | instskip(NEXT) | instid1(VALU_DEP_2)
	v_add_f16_e64 v120, v222, v120
	v_add_f16_e32 v42, v42, v70
	s_delay_alu instid0(VALU_DEP_2) | instskip(SKIP_1) | instid1(VALU_DEP_2)
	v_add_f16_e64 v70, v224, v120
	v_fma_f16 v120, v169, 0x3722, -v191
	v_add_f16_e64 v45, v226, v70
	v_fma_f16 v70, v166, 0x3b76, -v183
	s_delay_alu instid0(VALU_DEP_2) | instskip(NEXT) | instid1(VALU_DEP_2)
	v_pack_b32_f16 v37, v45, v42
	v_add_f16_e32 v41, v70, v41
	v_add_f16_e64 v70, v102, v193
	v_pack_b32_f16 v42, v61, v54
	s_delay_alu instid0(VALU_DEP_3) | instskip(NEXT) | instid1(VALU_DEP_3)
	v_add_f16_e32 v41, v120, v41
	v_add_f16_e64 v70, v195, v70
	s_delay_alu instid0(VALU_DEP_2) | instskip(NEXT) | instid1(VALU_DEP_2)
	v_add_f16_e32 v41, v43, v41
	v_add_f16_e64 v70, v197, v70
	s_delay_alu instid0(VALU_DEP_2) | instskip(SKIP_1) | instid1(VALU_DEP_3)
	v_add_f16_e32 v41, v46, v41
	v_fma_f16 v46, v174, 0x39e9, -v198
	v_add_f16_e64 v43, v199, v70
	v_mul_f16_e32 v70, 0xb5c8, v121
	s_delay_alu instid0(VALU_DEP_3) | instskip(SKIP_1) | instid1(VALU_DEP_4)
	v_add_f16_e32 v41, v46, v41
	v_mul_f16_e32 v46, 0x2de8, v123
	v_add_f16_e64 v43, v200, v43
	s_delay_alu instid0(VALU_DEP_4) | instskip(SKIP_1) | instid1(VALU_DEP_3)
	v_sub_f16_e64 v70, v145, v70
	s_wait_loadcnt 0x0
	v_add_f16_e32 v46, v46, v35
	scratch_load_b32 v35, off, off offset:48 th:TH_LOAD_LU ; 4-byte Folded Reload
	v_add_f16_e64 v43, v204, v43
	v_add_f16_e32 v70, v112, v70
	v_dual_mov_b32 v204, v71 :: v_dual_mov_b32 v71, v77
	v_add_f16_e32 v38, v46, v38
	v_mul_f16_e32 v46, 0xb8d2, v127
	v_add_f16_e64 v43, v206, v43
	v_dual_mov_b32 v77, v82 :: v_dual_mov_b32 v82, v88
	v_mov_b32_e32 v88, v135
	v_mov_b32_e32 v206, v130
	s_delay_alu instid0(VALU_DEP_4) | instskip(SKIP_3) | instid1(VALU_DEP_3)
	v_add_f16_e64 v40, v208, v43
	v_mul_f16_e32 v43, 0xb964, v121
	v_dual_mov_b32 v208, v75 :: v_dual_mov_b32 v75, v81
	v_dual_mov_b32 v81, v86 :: v_dual_mov_b32 v86, v134
	v_sub_f16_e64 v43, v160, v43
	v_pack_b32_f16 v40, v40, v41
	v_pack_b32_f16 v41, v52, v63
	s_delay_alu instid0(VALU_DEP_3) | instskip(NEXT) | instid1(VALU_DEP_1)
	v_add_f16_e32 v43, v112, v43
	v_add_f16_e32 v43, v44, v43
	v_mul_f16_e64 v44, 0xba62, v129
	s_delay_alu instid0(VALU_DEP_1) | instskip(NEXT) | instid1(VALU_DEP_1)
	v_sub_f16_e64 v44, v194, v44
	v_add_f16_e32 v43, v44, v43
	v_mul_f16_e64 v44, 0xb1e1, v133
	s_delay_alu instid0(VALU_DEP_1) | instskip(NEXT) | instid1(VALU_DEP_1)
	v_sub_f16_e64 v44, v146, v44
	;; [unrolled: 4-line block ×5, first 2 shown]
	v_add_f16_e32 v43, v44, v43
	v_add_f16_e32 v44, v115, v47
	v_mul_f16_e64 v47, 0x35c8, v159
	s_delay_alu instid0(VALU_DEP_2) | instskip(SKIP_1) | instid1(VALU_DEP_3)
	v_add_f16_e32 v44, v111, v44
	v_mul_f16_e32 v111, 0xb964, v125
	v_sub_f16_e64 v47, v158, v47
	s_delay_alu instid0(VALU_DEP_3) | instskip(NEXT) | instid1(VALU_DEP_3)
	v_add_f16_e32 v44, v114, v44
	v_sub_f16_e64 v111, v170, v111
	s_delay_alu instid0(VALU_DEP_3) | instskip(NEXT) | instid1(VALU_DEP_3)
	v_add_f16_e32 v43, v47, v43
	v_add_f16_e32 v44, v110, v44
	s_delay_alu instid0(VALU_DEP_3) | instskip(NEXT) | instid1(VALU_DEP_2)
	v_add_f16_e32 v70, v111, v70
	v_add_f16_e32 v44, v109, v44
	v_mul_f16_e64 v109, 0xbb29, v129
	s_delay_alu instid0(VALU_DEP_2) | instskip(NEXT) | instid1(VALU_DEP_2)
	v_add_f16_e32 v44, v108, v44
	v_sub_f16_e64 v109, v165, v109
	v_mul_f16_e64 v108, 0xbbf7, v133
	s_delay_alu instid0(VALU_DEP_3) | instskip(NEXT) | instid1(VALU_DEP_3)
	v_add_f16_e32 v44, v107, v44
	v_add_f16_e32 v70, v109, v70
	s_delay_alu instid0(VALU_DEP_3) | instskip(SKIP_1) | instid1(VALU_DEP_4)
	v_sub_f16_e64 v108, v168, v108
	v_mul_f16_e64 v107, 0xbbb2, v139
	v_add_f16_e32 v44, v106, v44
	s_delay_alu instid0(VALU_DEP_3) | instskip(NEXT) | instid1(VALU_DEP_3)
	v_add_f16_e32 v70, v108, v70
	v_sub_f16_e64 v107, v162, v107
	s_delay_alu instid0(VALU_DEP_3) | instskip(SKIP_1) | instid1(VALU_DEP_3)
	v_add_f16_e32 v44, v105, v44
	v_mul_f16_e64 v105, 0xba62, v144
	v_add_f16_e32 v70, v107, v70
	s_delay_alu instid0(VALU_DEP_3) | instskip(SKIP_1) | instid1(VALU_DEP_2)
	v_add_f16_e32 v44, v104, v44
	v_mul_f16_e64 v104, 0xb836, v152
	v_add_f16_e32 v44, v103, v44
	v_mul_f16_e64 v103, 0xb1e1, v159
	s_delay_alu instid0(VALU_DEP_2) | instskip(NEXT) | instid1(VALU_DEP_2)
	v_add_f16_e32 v44, v101, v44
	v_sub_f16_e32 v103, v117, v103
	v_mov_b32_e32 v117, v32
	v_mul_f16_e64 v101, 0xbbdd, v156
	scratch_load_b32 v32, off, off offset:4 th:TH_LOAD_LU ; 4-byte Folded Reload
	v_add_f16_e32 v44, v100, v44
	v_mul_f16_e64 v100, 0x3b76, v156
	v_add_f16_e64 v101, v101, v141
	s_delay_alu instid0(VALU_DEP_3) | instskip(NEXT) | instid1(VALU_DEP_3)
	v_add_f16_e32 v44, v97, v44
	v_add_f16_e32 v100, v100, v33
	s_wait_loadcnt 0x1
	v_add_f16_e32 v46, v46, v35
	scratch_load_b32 v35, off, off offset:40 th:TH_LOAD_LU ; 4-byte Folded Reload
	v_add_f16_e32 v38, v46, v38
	v_mul_f16_e64 v46, 0xbbdd, v131
	s_wait_loadcnt 0x1
	v_pack_b32_f16 v32, v32, v44
	s_wait_loadcnt 0x0
	s_delay_alu instid0(VALU_DEP_2) | instskip(SKIP_3) | instid1(VALU_DEP_1)
	v_add_f16_e32 v46, v46, v35
	scratch_load_b32 v35, off, off offset:36 th:TH_LOAD_LU ; 4-byte Folded Reload
	v_add_f16_e32 v38, v46, v38
	v_mul_f16_e64 v46, 0xbacd, v136
	v_add_f16_e64 v46, v46, v148
	s_delay_alu instid0(VALU_DEP_1) | instskip(SKIP_1) | instid1(VALU_DEP_1)
	v_add_f16_e32 v38, v46, v38
	v_mul_f16_e64 v46, 0xb461, v142
	v_add_f16_e64 v46, v46, v151
	s_delay_alu instid0(VALU_DEP_1) | instskip(SKIP_1) | instid1(VALU_DEP_1)
	v_add_f16_e32 v38, v46, v38
	v_mul_f16_e64 v46, 0x3722, v150
	v_add_f16_e64 v46, v46, v153
	s_delay_alu instid0(VALU_DEP_1) | instskip(SKIP_1) | instid1(VALU_DEP_2)
	v_add_f16_e32 v38, v46, v38
	v_mul_f16_e32 v46, 0x3b76, v119
	v_add_f16_e32 v38, v100, v38
	s_delay_alu instid0(VALU_DEP_2) | instskip(NEXT) | instid1(VALU_DEP_2)
	v_add_f16_e64 v46, v46, v143
	v_pack_b32_f16 v38, v38, v43
	s_delay_alu instid0(VALU_DEP_2) | instskip(SKIP_2) | instid1(VALU_DEP_2)
	v_add_f16_e32 v46, v102, v46
	v_mul_f16_e32 v102, 0x39e9, v123
	v_add_f16_e32 v43, v59, v62
	v_add_f16_e64 v102, v102, v163
	s_delay_alu instid0(VALU_DEP_1) | instskip(SKIP_1) | instid1(VALU_DEP_1)
	v_add_f16_e32 v46, v102, v46
	v_mul_f16_e32 v102, 0x3722, v127
	v_add_f16_e64 v102, v102, v164
	s_delay_alu instid0(VALU_DEP_1) | instskip(SKIP_1) | instid1(VALU_DEP_1)
	v_add_f16_e32 v46, v102, v46
	v_mul_f16_e64 v102, 0x2de8, v131
	v_add_f16_e64 v102, v102, v172
	s_delay_alu instid0(VALU_DEP_1) | instskip(SKIP_1) | instid1(VALU_DEP_1)
	v_add_f16_e32 v46, v102, v46
	v_mul_f16_e64 v102, 0xb461, v136
	v_add_f16_e32 v102, v102, v126
	s_delay_alu instid0(VALU_DEP_1)
	v_add_f16_e32 v46, v102, v46
	v_mul_f16_e64 v102, 0xb8d2, v142
	s_wait_loadcnt 0x0
	v_sub_f16_e32 v105, v35, v105
	scratch_load_b32 v35, off, off offset:28 th:TH_LOAD_LU ; 4-byte Folded Reload
	v_add_f16_e32 v70, v105, v70
	s_wait_loadcnt 0x0
	v_add_f16_e32 v102, v102, v35
	scratch_load_b32 v35, off, off offset:32 th:TH_LOAD_LU ; 4-byte Folded Reload
	v_add_f16_e32 v46, v102, v46
	v_mul_f16_e64 v102, 0xbacd, v150
	s_wait_loadcnt 0x0
	v_sub_f16_e32 v104, v35, v104
	scratch_load_b32 v35, off, off offset:24 th:TH_LOAD_LU ; 4-byte Folded Reload
	v_add_f16_e32 v70, v104, v70
	s_delay_alu instid0(VALU_DEP_1) | instskip(SKIP_4) | instid1(VALU_DEP_4)
	v_add_f16_e32 v47, v103, v70
	v_and_b32_e32 v70, 0xffff, v72
	v_dual_mov_b32 v72, v79 :: v_dual_mov_b32 v79, v85
	v_mov_b32_e32 v85, v89
	v_mov_b32_e32 v89, v93
	v_lshl_add_u32 v39, v70, 2, v204
	v_dual_mov_b32 v93, v96 :: v_dual_mov_b32 v96, v57
	v_dual_mov_b32 v57, v58 :: v_dual_mov_b32 v58, v60
	;; [unrolled: 1-line block ×3, first 2 shown]
	s_wait_loadcnt 0x0
	v_add_f16_e32 v102, v102, v35
	s_delay_alu instid0(VALU_DEP_1) | instskip(NEXT) | instid1(VALU_DEP_1)
	v_add_f16_e32 v46, v102, v46
	v_add_f16_e32 v46, v101, v46
	s_delay_alu instid0(VALU_DEP_1)
	v_pack_b32_f16 v46, v46, v47
	ds_store_2addr_b32 v39, v32, v46 offset1:1
	ds_store_2addr_b32 v39, v38, v36 offset0:2 offset1:3
	ds_store_2addr_b32 v39, v40, v37 offset0:4 offset1:5
	;; [unrolled: 1-line block ×3, first 2 shown]
	s_clause 0x1
	scratch_load_b32 v33, off, off offset:16 th:TH_LOAD_LU
	scratch_load_b32 v34, off, off offset:20 th:TH_LOAD_LU
	v_pack_b32_f16 v40, v212, v202
	v_pack_b32_f16 v32, v122, v48
	;; [unrolled: 1-line block ×5, first 2 shown]
	v_perm_b32 v41, v117, v113, 0x5040100
	s_wait_loadcnt 0x0
	v_pack_b32_f16 v35, v34, v33
	s_clause 0x2
	scratch_load_b32 v202, off, off
	scratch_load_b32 v33, off, off offset:8 th:TH_LOAD_LU
	scratch_load_b32 v34, off, off offset:12 th:TH_LOAD_LU
	s_wait_loadcnt 0x0
	v_pack_b32_f16 v33, v34, v33
	v_perm_b32 v34, v99, v98, 0x5040100
	ds_store_2addr_b32 v39, v36, v32 offset0:8 offset1:9
	ds_store_2addr_b32 v39, v38, v37 offset0:10 offset1:11
	;; [unrolled: 1-line block ×4, first 2 shown]
	ds_store_b32 v39, v41 offset:64
.LBB0_17:
	s_wait_alu 0xfffe
	s_or_b32 exec_lo, exec_lo, s1
	v_add_nc_u32_e32 v36, 0x800, v55
	v_add_nc_u32_e32 v32, 0x200, v55
	;; [unrolled: 1-line block ×6, first 2 shown]
	global_wb scope:SCOPE_SE
	s_wait_storecnt_dscnt 0x0
	s_barrier_signal -1
	s_barrier_wait -1
	global_inv scope:SCOPE_SE
	ds_load_2addr_b32 v[34:35], v55 offset1:85
	ds_load_2addr_b32 v[32:33], v32 offset0:42 offset1:144
	ds_load_2addr_b32 v[44:45], v36 offset0:32 offset1:117
	;; [unrolled: 1-line block ×6, first 2 shown]
	ds_load_b32 v46, v55 offset:5032
	s_and_saveexec_b32 s1, s0
	s_cbranch_execz .LBB0_19
; %bb.18:
	ds_load_b32 v98, v55 offset:1020
	ds_load_b32 v113, v55 offset:2108
	;; [unrolled: 1-line block ×5, first 2 shown]
	s_wait_dscnt 0x4
	v_lshrrev_b32_e32 v99, 16, v98
	s_wait_dscnt 0x3
	v_lshrrev_b32_e32 v117, 16, v113
	;; [unrolled: 2-line block ×5, first 2 shown]
.LBB0_19:
	s_wait_alu 0xfffe
	s_or_b32 exec_lo, exec_lo, s1
	s_wait_dscnt 0x6
	v_lshrrev_b32_e32 v48, 16, v33
	s_wait_dscnt 0x4
	v_lshrrev_b32_e32 v52, 16, v39
	v_lshrrev_b32_e32 v50, 16, v44
	s_wait_dscnt 0x3
	v_lshrrev_b32_e32 v54, 16, v42
	s_wait_dscnt 0x2
	v_lshrrev_b32_e32 v59, 16, v40
	v_mul_f16_e32 v103, v90, v48
	v_mul_f16_e32 v105, v86, v52
	s_wait_dscnt 0x1
	v_lshrrev_b32_e32 v62, 16, v36
	v_mul_f16_e32 v90, v90, v33
	v_mul_f16_e32 v104, v88, v50
	;; [unrolled: 1-line block ×3, first 2 shown]
	v_fmac_f16_e32 v103, v12, v33
	v_fmac_f16_e32 v105, v14, v39
	v_mul_f16_e32 v33, v86, v39
	v_mul_f16_e32 v39, v85, v54
	v_lshrrev_b32_e32 v61, 16, v45
	v_lshrrev_b32_e32 v63, 16, v43
	v_fma_f16 v12, v12, v48, -v90
	v_fmac_f16_e32 v104, v13, v44
	v_fma_f16 v13, v13, v50, -v88
	v_mul_f16_e32 v44, v85, v42
	v_mul_f16_e64 v48, v210, v59
	v_mul_f16_e64 v50, v210, v40
	v_fmac_f16_e32 v39, v15, v42
	v_mul_f16_e32 v42, v81, v62
	v_lshrrev_b32_e32 v97, 16, v41
	v_lshrrev_b32_e32 v100, 16, v38
	v_fma_f16 v14, v14, v52, -v33
	v_fma_f16 v15, v15, v54, -v44
	v_fmac_f16_e32 v48, v8, v40
	v_fma_f16 v8, v8, v59, -v50
	v_mul_f16_e32 v33, v83, v61
	v_mul_f16_e32 v40, v83, v45
	v_mul_f16_e32 v44, v81, v36
	v_mul_f16_e32 v50, v80, v63
	v_fmac_f16_e32 v42, v10, v36
	v_mul_f16_e32 v36, v80, v43
	v_lshrrev_b32_e32 v101, 16, v37
	v_fmac_f16_e32 v33, v9, v45
	v_fma_f16 v9, v9, v61, -v40
	v_fma_f16 v10, v10, v62, -v44
	v_fmac_f16_e32 v50, v11, v43
	v_mul_f16_e32 v40, v77, v97
	v_mul_f16_e32 v44, v76, v100
	;; [unrolled: 1-line block ×3, first 2 shown]
	v_fma_f16 v11, v11, v63, -v36
	v_add_f16_e32 v36, v104, v105
	s_wait_dscnt 0x0
	v_lshrrev_b32_e32 v102, 16, v46
	v_mul_f16_e32 v43, v77, v41
	v_fmac_f16_e32 v40, v4, v41
	v_fmac_f16_e32 v44, v5, v38
	v_fma_f16 v5, v5, v100, -v45
	v_mul_f16_e32 v38, v74, v101
	v_mul_f16_e32 v41, v74, v37
	v_add_f16_e32 v45, v34, v103
	v_fma_f16 v36, -0.5, v36, v34
	v_sub_f16_e32 v52, v12, v15
	v_lshrrev_b32_e32 v47, 16, v34
	v_fma_f16 v4, v4, v97, -v43
	v_mul_f16_e32 v43, v71, v102
	v_fmac_f16_e32 v38, v6, v37
	v_fma_f16 v6, v6, v101, -v41
	v_add_f16_e32 v37, v45, v104
	v_fmamk_f16 v41, v52, 0xbb9c, v36
	v_sub_f16_e32 v45, v13, v14
	v_sub_f16_e32 v54, v103, v104
	;; [unrolled: 1-line block ×3, first 2 shown]
	v_add_f16_e32 v61, v103, v39
	v_fmac_f16_e32 v36, 0x3b9c, v52
	v_fmac_f16_e32 v43, v7, v46
	v_mul_f16_e32 v46, v71, v46
	v_add_f16_e32 v37, v37, v105
	v_fmac_f16_e32 v41, 0xb8b4, v45
	v_add_f16_e32 v54, v54, v59
	v_fma_f16 v34, -0.5, v61, v34
	v_sub_f16_e32 v59, v104, v103
	v_sub_f16_e32 v61, v105, v39
	v_fmac_f16_e32 v36, 0x38b4, v45
	v_add_f16_e32 v62, v47, v12
	v_add_f16_e32 v63, v13, v14
	v_fma_f16 v7, v7, v102, -v46
	v_add_f16_e32 v37, v37, v39
	v_fmac_f16_e32 v41, 0x34f2, v54
	v_fmamk_f16 v46, v45, 0x3b9c, v34
	v_add_f16_e32 v59, v59, v61
	v_fmac_f16_e32 v34, 0xbb9c, v45
	v_add_f16_e32 v45, v62, v13
	v_fma_f16 v61, -0.5, v63, v47
	v_sub_f16_e32 v39, v103, v39
	v_fmac_f16_e32 v36, 0x34f2, v54
	v_add_f16_e32 v54, v12, v15
	v_sub_f16_e32 v63, v12, v13
	v_sub_f16_e32 v12, v13, v12
	;; [unrolled: 1-line block ×3, first 2 shown]
	v_fmac_f16_e32 v46, 0xb8b4, v52
	v_fmac_f16_e32 v34, 0x38b4, v52
	v_add_f16_e32 v45, v45, v14
	v_fmamk_f16 v52, v39, 0x3b9c, v61
	v_sub_f16_e32 v62, v104, v105
	v_sub_f16_e32 v71, v15, v14
	v_fmac_f16_e32 v47, -0.5, v54
	v_fmac_f16_e32 v61, 0xbb9c, v39
	v_add_f16_e32 v14, v33, v42
	v_add_f16_e32 v12, v12, v13
	;; [unrolled: 1-line block ×3, first 2 shown]
	v_lshrrev_b32_e32 v56, 16, v35
	v_fmac_f16_e32 v46, 0x34f2, v59
	v_fmac_f16_e32 v34, 0x34f2, v59
	v_add_f16_e32 v45, v45, v15
	v_fmac_f16_e32 v52, 0x38b4, v62
	v_add_f16_e32 v54, v63, v71
	v_fmamk_f16 v59, v62, 0xbb9c, v47
	v_fmac_f16_e32 v61, 0xb8b4, v62
	v_fma_f16 v14, -0.5, v14, v35
	v_sub_f16_e32 v15, v8, v11
	v_fmac_f16_e32 v47, 0x3b9c, v62
	v_add_f16_e32 v13, v13, v33
	v_sub_f16_e32 v63, v48, v33
	v_sub_f16_e32 v71, v50, v42
	v_add_f16_e32 v74, v48, v50
	v_fmac_f16_e32 v52, 0x34f2, v54
	v_fmac_f16_e32 v59, 0x38b4, v39
	;; [unrolled: 1-line block ×3, first 2 shown]
	v_fmamk_f16 v54, v15, 0xbb9c, v14
	v_sub_f16_e32 v62, v9, v10
	v_fmac_f16_e32 v47, 0xb8b4, v39
	v_add_f16_e32 v13, v13, v42
	v_add_f16_e32 v39, v63, v71
	v_fmac_f16_e32 v35, -0.5, v74
	v_fmac_f16_e32 v14, 0x3b9c, v15
	v_sub_f16_e32 v63, v33, v48
	v_sub_f16_e32 v71, v42, v50
	v_add_f16_e32 v74, v56, v8
	v_add_f16_e32 v76, v9, v10
	v_fmac_f16_e32 v59, 0x34f2, v12
	v_fmac_f16_e32 v54, 0xb8b4, v62
	v_fmac_f16_e32 v47, 0x34f2, v12
	v_add_f16_e32 v12, v13, v50
	v_fmamk_f16 v13, v62, 0x3b9c, v35
	v_fmac_f16_e32 v14, 0x38b4, v62
	v_add_f16_e32 v63, v63, v71
	v_fmac_f16_e32 v35, 0xbb9c, v62
	v_add_f16_e32 v62, v74, v9
	v_fma_f16 v71, -0.5, v76, v56
	v_sub_f16_e32 v48, v48, v50
	v_add_f16_e32 v50, v8, v11
	v_fmac_f16_e32 v54, 0x34f2, v39
	v_fmac_f16_e32 v13, 0xb8b4, v15
	;; [unrolled: 1-line block ×4, first 2 shown]
	v_add_f16_e32 v15, v62, v10
	v_fmamk_f16 v39, v48, 0x3b9c, v71
	v_sub_f16_e32 v33, v33, v42
	v_sub_f16_e32 v42, v8, v9
	;; [unrolled: 1-line block ×3, first 2 shown]
	v_fmac_f16_e32 v56, -0.5, v50
	v_fmac_f16_e32 v71, 0xbb9c, v48
	v_sub_f16_e32 v8, v9, v8
	v_sub_f16_e32 v9, v10, v11
	v_add_f16_e32 v10, v44, v38
	v_add_f16_e32 v15, v15, v11
	v_fmac_f16_e32 v39, 0x38b4, v33
	v_add_f16_e32 v42, v42, v62
	v_fmamk_f16 v50, v33, 0xbb9c, v56
	v_fmac_f16_e32 v71, 0xb8b4, v33
	v_add_f16_e32 v8, v8, v9
	v_fmac_f16_e32 v56, 0x3b9c, v33
	v_add_f16_e32 v9, v32, v40
	v_fma_f16 v10, -0.5, v10, v32
	v_sub_f16_e32 v11, v4, v7
	v_fmac_f16_e32 v13, 0x34f2, v63
	v_fmac_f16_e32 v35, 0x34f2, v63
	;; [unrolled: 1-line block ×6, first 2 shown]
	v_add_f16_e32 v9, v9, v44
	v_fmamk_f16 v33, v11, 0xbb9c, v10
	v_sub_f16_e32 v42, v5, v6
	v_sub_f16_e32 v48, v40, v44
	;; [unrolled: 1-line block ×3, first 2 shown]
	v_fmac_f16_e32 v10, 0x3b9c, v11
	v_add_f16_e32 v63, v40, v43
	v_lshrrev_b32_e32 v70, 16, v32
	v_add_f16_e32 v9, v9, v38
	v_fmac_f16_e32 v33, 0xb8b4, v42
	v_add_f16_e32 v48, v48, v62
	v_fmac_f16_e32 v10, 0x38b4, v42
	v_fmac_f16_e32 v32, -0.5, v63
	v_sub_f16_e32 v62, v44, v40
	v_sub_f16_e32 v63, v38, v43
	v_fmac_f16_e32 v50, 0x34f2, v8
	v_fmac_f16_e32 v56, 0x34f2, v8
	v_add_f16_e32 v8, v9, v43
	v_fmac_f16_e32 v33, 0x34f2, v48
	v_fmac_f16_e32 v10, 0x34f2, v48
	v_fmamk_f16 v9, v42, 0x3b9c, v32
	v_add_f16_e32 v48, v5, v6
	v_fmac_f16_e32 v32, 0xbb9c, v42
	v_sub_f16_e32 v40, v40, v43
	v_add_f16_e32 v43, v62, v63
	v_add_f16_e32 v62, v4, v7
	;; [unrolled: 1-line block ×3, first 2 shown]
	v_fma_f16 v48, -0.5, v48, v70
	v_fmac_f16_e32 v9, 0xb8b4, v11
	v_fmac_f16_e32 v32, 0x38b4, v11
	v_sub_f16_e32 v38, v44, v38
	v_fmac_f16_e32 v70, -0.5, v62
	v_add_f16_e32 v11, v42, v5
	v_fmamk_f16 v42, v40, 0x3b9c, v48
	v_fmac_f16_e32 v9, 0x34f2, v43
	v_fmac_f16_e32 v32, 0x34f2, v43
	v_sub_f16_e32 v43, v4, v5
	v_sub_f16_e32 v44, v7, v6
	v_fmac_f16_e32 v48, 0xbb9c, v40
	v_fmamk_f16 v62, v38, 0xbb9c, v70
	v_sub_f16_e32 v4, v5, v4
	v_sub_f16_e32 v5, v6, v7
	v_fmac_f16_e32 v70, 0x3b9c, v38
	v_add_f16_e32 v11, v11, v6
	v_fmac_f16_e32 v42, 0x38b4, v38
	v_add_f16_e32 v6, v43, v44
	v_fmac_f16_e32 v48, 0xb8b4, v38
	v_fmac_f16_e32 v62, 0x38b4, v40
	v_add_f16_e32 v4, v4, v5
	v_fmac_f16_e32 v70, 0xb8b4, v40
	v_fmac_f16_e32 v42, 0x34f2, v6
	;; [unrolled: 1-line block ×3, first 2 shown]
	v_pack_b32_f16 v6, v41, v52
	v_fmac_f16_e32 v62, 0x34f2, v4
	v_fmac_f16_e32 v70, 0x34f2, v4
	v_pack_b32_f16 v4, v37, v45
	v_add_f16_e32 v5, v11, v7
	v_pack_b32_f16 v7, v46, v59
	v_pack_b32_f16 v11, v34, v47
	;; [unrolled: 1-line block ×5, first 2 shown]
	global_wb scope:SCOPE_SE
	s_barrier_signal -1
	s_barrier_wait -1
	global_inv scope:SCOPE_SE
	ds_store_2addr_b32 v60, v4, v6 offset1:17
	ds_store_2addr_b32 v60, v7, v11 offset0:34 offset1:51
	ds_store_b32 v60, v34 offset:272
	ds_store_2addr_b32 v58, v12, v15 offset1:17
	v_pack_b32_f16 v4, v13, v50
	v_pack_b32_f16 v6, v35, v56
	;; [unrolled: 1-line block ×8, first 2 shown]
	ds_store_2addr_b32 v58, v4, v6 offset0:34 offset1:51
	ds_store_b32 v58, v7 offset:272
	ds_store_2addr_b32 v57, v5, v8 offset1:17
	ds_store_2addr_b32 v57, v9, v11 offset0:34 offset1:51
	ds_store_b32 v57, v10 offset:272
	s_and_saveexec_b32 s1, s0
	s_cbranch_execz .LBB0_21
; %bb.20:
	v_mul_f16_e64 v4, v209, v113
	v_mul_f16_e64 v6, v209, v117
	;; [unrolled: 1-line block ×5, first 2 shown]
	v_fma_f16 v4, v0, v117, -v4
	v_fmac_f16_e32 v6, v0, v113
	v_mul_f16_e64 v0, v207, v67
	v_mul_f16_e64 v9, v208, v69
	v_fma_f16 v8, v1, v69, -v8
	v_add_f16_e32 v10, v4, v99
	v_mul_f16_e64 v11, v206, v66
	v_fma_f16 v7, v2, v67, -v7
	v_fmac_f16_e32 v0, v2, v65
	v_fma_f16 v2, v3, v66, -v5
	v_fmac_f16_e32 v9, v1, v68
	v_add_f16_e32 v10, v8, v10
	v_fmac_f16_e32 v11, v3, v64
	v_add_f16_e32 v12, v8, v7
	v_add_f16_e32 v5, v4, v2
	v_sub_f16_e32 v13, v8, v4
	v_add_f16_e32 v3, v7, v10
	v_sub_f16_e32 v10, v9, v0
	v_sub_f16_e32 v15, v6, v11
	v_fma_f16 v5, -0.5, v5, v99
	v_fmac_f16_e32 v99, -0.5, v12
	v_sub_f16_e32 v14, v7, v2
	v_add_f16_e32 v1, v6, v98
	v_add_f16_e32 v3, v2, v3
	v_fmamk_f16 v12, v10, 0x3b9c, v5
	v_fmac_f16_e32 v5, 0xbb9c, v10
	v_fmamk_f16 v34, v15, 0xbb9c, v99
	v_fmac_f16_e32 v99, 0x3b9c, v15
	v_add_f16_e32 v13, v13, v14
	v_fmac_f16_e32 v12, 0xb8b4, v15
	v_fmac_f16_e32 v5, 0x38b4, v15
	;; [unrolled: 1-line block ×3, first 2 shown]
	v_add_f16_e32 v15, v6, v11
	v_fmac_f16_e32 v99, 0x38b4, v10
	v_add_f16_e32 v10, v9, v0
	v_add_f16_e32 v1, v9, v1
	v_sub_f16_e32 v33, v2, v7
	v_fmac_f16_e32 v12, 0x34f2, v13
	v_fmac_f16_e32 v5, 0x34f2, v13
	v_fma_f16 v13, -0.5, v15, v98
	v_sub_f16_e32 v2, v4, v2
	v_fmac_f16_e32 v98, -0.5, v10
	v_sub_f16_e32 v7, v8, v7
	v_add_f16_e32 v1, v0, v1
	v_sub_f16_e32 v32, v4, v8
	v_sub_f16_e32 v8, v9, v6
	;; [unrolled: 1-line block ×5, first 2 shown]
	v_fmamk_f16 v9, v2, 0x3b9c, v98
	v_fmac_f16_e32 v98, 0xbb9c, v2
	v_fmamk_f16 v10, v7, 0xbb9c, v13
	v_fmac_f16_e32 v13, 0x3b9c, v7
	v_add_f16_e32 v14, v32, v33
	v_add_f16_e32 v0, v6, v0
	v_fmac_f16_e32 v98, 0xb8b4, v7
	v_add_f16_e32 v4, v8, v4
	v_fmac_f16_e32 v10, 0x38b4, v2
	v_fmac_f16_e32 v13, 0xb8b4, v2
	;; [unrolled: 1-line block ×3, first 2 shown]
	v_add_f16_e32 v1, v11, v1
	v_fmac_f16_e32 v99, 0x34f2, v14
	v_fmac_f16_e32 v98, 0x34f2, v0
	v_lshl_add_u32 v2, v205, 2, v204
	v_fmac_f16_e32 v10, 0x34f2, v4
	v_fmac_f16_e32 v13, 0x34f2, v4
	;; [unrolled: 1-line block ×4, first 2 shown]
	v_pack_b32_f16 v0, v1, v3
	v_pack_b32_f16 v1, v98, v99
	v_add_nc_u32_e32 v3, 0x1200, v2
	v_pack_b32_f16 v4, v13, v5
	v_pack_b32_f16 v5, v10, v12
	v_add_nc_u32_e32 v6, 0x1400, v2
	v_pack_b32_f16 v7, v9, v34
	ds_store_2addr_b32 v3, v0, v1 offset0:123 offset1:140
	ds_store_2addr_b32 v6, v4, v5 offset0:29 offset1:46
	ds_store_b32 v2, v7 offset:5372
.LBB0_21:
	s_wait_alu 0xfffe
	s_or_b32 exec_lo, exec_lo, s1
	global_wb scope:SCOPE_SE
	s_wait_dscnt 0x0
	s_barrier_signal -1
	s_barrier_wait -1
	global_inv scope:SCOPE_SE
	ds_load_2addr_b32 v[0:1], v55 offset1:85
	v_add_nc_u32_e32 v2, 0x200, v55
	ds_load_b32 v14, v55 offset:680
	ds_load_2addr_b32 v[2:3], v2 offset0:127 offset1:212
	v_add_nc_u32_e32 v4, 0x400, v55
	v_add_nc_u32_e32 v6, 0x800, v55
	;; [unrolled: 1-line block ×5, first 2 shown]
	ds_load_2addr_b32 v[4:5], v4 offset0:169 offset1:254
	ds_load_2addr_b32 v[6:7], v6 offset0:83 offset1:168
	;; [unrolled: 1-line block ×5, first 2 shown]
	ds_load_b32 v15, v55 offset:5100
	s_wait_dscnt 0x8
	v_lshrrev_b32_e32 v33, 16, v1
	v_mul_f16_e32 v50, v96, v1
	v_lshrrev_b32_e32 v32, 16, v0
	s_wait_dscnt 0x7
	v_lshrrev_b32_e32 v34, 16, v14
	s_wait_dscnt 0x6
	v_lshrrev_b32_e32 v35, 16, v2
	v_mul_f16_e32 v46, v96, v33
	v_lshrrev_b32_e32 v36, 16, v3
	v_mul_f16_e32 v52, v95, v34
	s_delay_alu instid0(VALU_DEP_4) | instskip(NEXT) | instid1(VALU_DEP_4)
	v_mul_f16_e32 v54, v94, v35
	v_fmac_f16_e32 v46, v24, v1
	v_mul_f16_e32 v1, v95, v14
	s_wait_dscnt 0x5
	v_lshrrev_b32_e32 v37, 16, v4
	v_lshrrev_b32_e32 v38, 16, v5
	s_wait_dscnt 0x4
	v_lshrrev_b32_e32 v39, 16, v6
	v_fmac_f16_e32 v52, v25, v14
	v_mul_f16_e32 v14, v94, v2
	v_fma_f16 v1, v25, v34, -v1
	v_fmac_f16_e32 v54, v26, v2
	v_mul_f16_e32 v2, v93, v36
	v_mul_f16_e32 v25, v93, v3
	v_lshrrev_b32_e32 v40, 16, v7
	v_fma_f16 v24, v24, v33, -v50
	v_fma_f16 v14, v26, v35, -v14
	v_mul_f16_e32 v26, v92, v37
	v_mul_f16_e32 v33, v92, v4
	v_fmac_f16_e32 v2, v27, v3
	v_fma_f16 v3, v27, v36, -v25
	v_mul_f16_e32 v25, v91, v38
	v_mul_f16_e32 v27, v89, v39
	s_wait_dscnt 0x3
	v_lshrrev_b32_e32 v41, 16, v8
	v_lshrrev_b32_e32 v42, 16, v9
	v_fmac_f16_e32 v26, v20, v4
	v_fma_f16 v4, v20, v37, -v33
	v_mul_f16_e32 v20, v91, v5
	v_fmac_f16_e32 v25, v21, v5
	v_mul_f16_e32 v5, v89, v6
	v_mul_f16_e32 v33, v87, v40
	v_fmac_f16_e32 v27, v22, v6
	v_mul_f16_e32 v6, v87, v7
	s_wait_dscnt 0x2
	v_lshrrev_b32_e32 v43, 16, v10
	v_lshrrev_b32_e32 v44, 16, v11
	s_wait_dscnt 0x1
	v_lshrrev_b32_e32 v45, 16, v12
	v_fma_f16 v20, v21, v38, -v20
	v_fma_f16 v5, v22, v39, -v5
	v_fmac_f16_e32 v33, v23, v7
	v_mul_f16_e32 v7, v84, v41
	v_mul_f16_e32 v21, v84, v8
	v_fma_f16 v6, v23, v40, -v6
	v_mul_f16_e32 v22, v82, v42
	v_mul_f16_e32 v23, v82, v9
	v_lshrrev_b32_e32 v47, 16, v13
	v_fmac_f16_e32 v7, v16, v8
	v_fma_f16 v8, v16, v41, -v21
	v_mul_f16_e32 v16, v79, v43
	v_fmac_f16_e32 v22, v17, v9
	v_fma_f16 v9, v17, v42, -v23
	v_mul_f16_e32 v17, v79, v10
	v_mul_f16_e32 v21, v78, v44
	v_mul_f16_e32 v23, v75, v45
	v_fmac_f16_e32 v16, v18, v10
	v_mul_f16_e32 v10, v78, v11
	v_fma_f16 v17, v18, v43, -v17
	v_fmac_f16_e32 v21, v19, v11
	v_mul_f16_e32 v11, v75, v12
	v_fmac_f16_e32 v23, v28, v12
	v_mul_f16_e32 v12, v73, v47
	v_mul_f16_e32 v18, v73, v13
	s_wait_dscnt 0x0
	v_lshrrev_b32_e32 v48, 16, v15
	v_fma_f16 v10, v19, v44, -v10
	v_fma_f16 v11, v28, v45, -v11
	v_fmac_f16_e32 v12, v29, v13
	v_fma_f16 v13, v29, v47, -v18
	v_mul_f16_e32 v19, v72, v48
	v_mul_f16_e32 v28, v72, v15
	v_sub_f16_e32 v6, v32, v6
	v_sub_f16_e32 v21, v2, v21
	;; [unrolled: 1-line block ×7, first 2 shown]
	v_fmac_f16_e32 v19, v30, v15
	v_fma_f16 v15, v30, v48, -v28
	v_sub_f16_e32 v22, v52, v22
	v_fma_f16 v28, v32, 2.0, -v6
	v_fma_f16 v2, v2, 2.0, -v21
	;; [unrolled: 1-line block ×6, first 2 shown]
	v_sub_f16_e32 v21, v6, v21
	v_sub_f16_e32 v12, v9, v12
	;; [unrolled: 1-line block ×9, first 2 shown]
	v_add_f16_e32 v10, v18, v10
	v_fma_f16 v6, v6, 2.0, -v21
	v_sub_f16_e32 v20, v1, v20
	v_add_f16_e32 v13, v22, v13
	v_fma_f16 v9, v9, 2.0, -v12
	v_fma_f16 v0, v0, 2.0, -v18
	;; [unrolled: 1-line block ×3, first 2 shown]
	v_sub_f16_e32 v8, v24, v8
	v_fma_f16 v30, v46, 2.0, -v7
	v_fma_f16 v26, v26, 2.0, -v23
	v_sub_f16_e32 v17, v14, v17
	v_fma_f16 v4, v4, 2.0, -v11
	v_fma_f16 v32, v54, 2.0, -v16
	;; [unrolled: 1-line block ×8, first 2 shown]
	v_add_f16_e32 v11, v7, v11
	v_add_f16_e32 v15, v16, v15
	v_fmamk_f16 v34, v9, 0xb9a8, v6
	v_sub_f16_e32 v2, v0, v2
	v_sub_f16_e32 v25, v29, v25
	v_sub_f16_e32 v26, v30, v26
	v_sub_f16_e32 v23, v8, v23
	v_sub_f16_e32 v27, v32, v27
	v_fma_f16 v7, v7, 2.0, -v11
	v_sub_f16_e32 v19, v17, v19
	v_fmamk_f16 v33, v22, 0xb9a8, v18
	v_fma_f16 v16, v16, 2.0, -v15
	v_sub_f16_e32 v1, v28, v1
	v_fmac_f16_e32 v34, 0xb9a8, v22
	v_fmamk_f16 v22, v13, 0x39a8, v10
	v_fma_f16 v24, v24, 2.0, -v8
	v_fma_f16 v14, v14, 2.0, -v17
	;; [unrolled: 1-line block ×7, first 2 shown]
	v_fmac_f16_e32 v33, 0x39a8, v9
	v_fma_f16 v9, v17, 2.0, -v19
	v_fma_f16 v17, v28, 2.0, -v1
	v_fmamk_f16 v28, v12, 0x39a8, v21
	v_fmac_f16_e32 v22, 0x39a8, v12
	v_fmamk_f16 v12, v16, 0xb9a8, v7
	v_sub_f16_e32 v4, v24, v4
	v_sub_f16_e32 v5, v14, v5
	;; [unrolled: 1-line block ×3, first 2 shown]
	v_fmac_f16_e32 v28, 0xb9a8, v13
	v_sub_f16_e32 v13, v30, v32
	v_fmamk_f16 v32, v9, 0xb9a8, v8
	v_fmac_f16_e32 v12, 0x39a8, v9
	v_fma_f16 v24, v24, 2.0, -v4
	v_fma_f16 v14, v14, 2.0, -v5
	;; [unrolled: 1-line block ×6, first 2 shown]
	v_fmac_f16_e32 v32, 0xb9a8, v16
	v_fma_f16 v7, v7, 2.0, -v12
	v_fmamk_f16 v16, v15, 0x39a8, v11
	v_fmamk_f16 v30, v19, 0x39a8, v23
	v_fma_f16 v6, v6, 2.0, -v34
	v_sub_f16_e32 v14, v24, v14
	v_add_f16_e32 v5, v26, v5
	v_fma_f16 v8, v8, 2.0, -v32
	v_fmac_f16_e32 v16, 0x39a8, v19
	v_fmac_f16_e32 v30, 0xb9a8, v15
	v_sub_f16_e32 v15, v0, v21
	v_fmamk_f16 v21, v7, 0xbb64, v18
	v_sub_f16_e32 v25, v3, v25
	v_sub_f16_e32 v27, v4, v27
	v_add_f16_e32 v20, v2, v20
	v_fma_f16 v10, v10, 2.0, -v22
	v_fma_f16 v24, v24, 2.0, -v14
	;; [unrolled: 1-line block ×4, first 2 shown]
	v_fmamk_f16 v26, v8, 0xbb64, v6
	v_fmac_f16_e32 v21, 0x361f, v8
	v_fma_f16 v3, v3, 2.0, -v25
	v_fma_f16 v4, v4, 2.0, -v27
	;; [unrolled: 1-line block ×3, first 2 shown]
	v_sub_f16_e32 v24, v17, v24
	v_fma_f16 v23, v23, 2.0, -v30
	v_fmac_f16_e32 v26, 0xb61f, v7
	v_fma_f16 v7, v18, 2.0, -v21
	v_fmamk_f16 v18, v11, 0xb61f, v10
	v_fmamk_f16 v35, v4, 0xb9a8, v3
	v_fma_f16 v8, v17, 2.0, -v24
	v_fmamk_f16 v17, v19, 0xb9a8, v2
	v_fma_f16 v0, v0, 2.0, -v15
	v_fmac_f16_e32 v18, 0x3b64, v23
	v_fmac_f16_e32 v35, 0xb9a8, v19
	v_fmamk_f16 v19, v23, 0xb61f, v9
	v_fmac_f16_e32 v17, 0x39a8, v4
	v_fma_f16 v4, v6, 2.0, -v26
	v_fma_f16 v6, v10, 2.0, -v18
	v_sub_f16_e32 v10, v1, v13
	v_fmamk_f16 v13, v12, 0x361f, v33
	v_fmac_f16_e32 v19, 0xbb64, v11
	v_add_f16_e32 v11, v29, v14
	v_fmamk_f16 v23, v32, 0x361f, v34
	v_fma_f16 v2, v2, 2.0, -v17
	v_fmac_f16_e32 v13, 0x3b64, v32
	v_fmamk_f16 v32, v27, 0x39a8, v25
	v_fma_f16 v14, v29, 2.0, -v11
	v_fmamk_f16 v29, v5, 0x39a8, v20
	v_fmac_f16_e32 v23, 0xbb64, v12
	v_fmamk_f16 v12, v16, 0x3b64, v22
	v_fmac_f16_e32 v32, 0xb9a8, v5
	;; [unrolled: 2-line block ×3, first 2 shown]
	v_fma_f16 v3, v3, 2.0, -v35
	v_fmac_f16_e32 v12, 0x361f, v30
	v_fma_f16 v9, v9, 2.0, -v19
	v_fmac_f16_e32 v5, 0xb61f, v16
	v_fma_f16 v1, v1, 2.0, -v10
	v_fma_f16 v33, v33, 2.0, -v13
	;; [unrolled: 1-line block ×5, first 2 shown]
	v_pack_b32_f16 v0, v0, v8
	v_fma_f16 v16, v22, 2.0, -v12
	v_pack_b32_f16 v4, v7, v4
	v_pack_b32_f16 v2, v2, v3
	v_fma_f16 v8, v28, 2.0, -v5
	v_pack_b32_f16 v3, v6, v9
	v_pack_b32_f16 v1, v14, v1
	v_add_nc_u32_e32 v7, 0x200, v53
	v_pack_b32_f16 v9, v12, v5
	ds_store_b32 v53, v0
	ds_store_2addr_b32 v53, v4, v2 offset0:85 offset1:170
	ds_store_2addr_b32 v7, v3, v1 offset0:127 offset1:212
	v_pack_b32_f16 v0, v33, v27
	v_pack_b32_f16 v1, v20, v25
	v_add_nc_u32_e32 v6, 0x400, v53
	v_add_nc_u32_e32 v5, 0x800, v53
	;; [unrolled: 1-line block ×5, first 2 shown]
	v_pack_b32_f16 v8, v16, v8
	v_pack_b32_f16 v12, v15, v24
	;; [unrolled: 1-line block ×8, first 2 shown]
	ds_store_2addr_b32 v6, v0, v1 offset0:169 offset1:254
	ds_store_2addr_b32 v5, v8, v12 offset0:83 offset1:168
	;; [unrolled: 1-line block ×5, first 2 shown]
	ds_store_b32 v53, v9 offset:5100
	global_wb scope:SCOPE_SE
	s_wait_dscnt 0x0
	s_barrier_signal -1
	s_barrier_wait -1
	global_inv scope:SCOPE_SE
	s_and_b32 exec_lo, exec_lo, vcc_lo
	s_cbranch_execz .LBB0_23
; %bb.22:
	global_load_b32 v0, v49, s[12:13]
	ds_load_b32 v1, v53
	s_mov_b32 s8, 0x18181818
	s_mov_b32 s9, 0x3f481818
	v_mad_co_u64_u32 v[12:13], null, s4, v51, 0
	s_wait_dscnt 0x0
	v_lshrrev_b32_e32 v8, 16, v1
	s_wait_loadcnt 0x0
	v_lshrrev_b32_e32 v9, 16, v0
	s_delay_alu instid0(VALU_DEP_1) | instskip(SKIP_1) | instid1(VALU_DEP_2)
	v_mul_f16_e32 v10, v8, v9
	v_mul_f16_e32 v9, v1, v9
	v_fmac_f16_e32 v10, v1, v0
	s_delay_alu instid0(VALU_DEP_2) | instskip(NEXT) | instid1(VALU_DEP_2)
	v_fma_f16 v0, v0, v8, -v9
	v_cvt_f32_f16_e32 v1, v10
	s_delay_alu instid0(VALU_DEP_2) | instskip(SKIP_1) | instid1(VALU_DEP_3)
	v_cvt_f32_f16_e32 v8, v0
	v_mad_co_u64_u32 v[10:11], null, s6, v31, 0
	v_cvt_f64_f32_e32 v[0:1], v1
	s_delay_alu instid0(VALU_DEP_3) | instskip(SKIP_1) | instid1(VALU_DEP_2)
	v_cvt_f64_f32_e32 v[8:9], v8
	s_wait_alu 0xfffe
	v_mul_f64_e32 v[0:1], s[8:9], v[0:1]
	s_delay_alu instid0(VALU_DEP_2) | instskip(NEXT) | instid1(VALU_DEP_2)
	v_mul_f64_e32 v[8:9], s[8:9], v[8:9]
	v_and_or_b32 v0, 0x1ff, v1, v0
	s_delay_alu instid0(VALU_DEP_2)
	v_and_or_b32 v8, 0x1ff, v9, v8
	v_lshrrev_b32_e32 v14, 8, v1
	v_bfe_u32 v16, v1, 20, 11
	v_lshrrev_b32_e32 v15, 8, v9
	v_cmp_ne_u32_e32 vcc_lo, 0, v0
	v_bfe_u32 v17, v9, 20, 11
	v_mov_b32_e32 v0, v13
	v_sub_nc_u32_e32 v19, 0x3f1, v16
	v_add_nc_u32_e32 v16, 0xfffffc10, v16
	v_cndmask_b32_e64 v18, 0, 1, vcc_lo
	v_cmp_ne_u32_e32 vcc_lo, 0, v8
	v_sub_nc_u32_e32 v20, 0x3f1, v17
	v_med3_i32 v19, v19, 0, 13
	v_lshrrev_b32_e32 v9, 16, v9
	v_and_or_b32 v18, 0xffe, v14, v18
	s_wait_alu 0xfffd
	v_cndmask_b32_e64 v8, 0, 1, vcc_lo
	v_mad_co_u64_u32 v[13:14], null, s7, v31, v[11:12]
	v_med3_i32 v20, v20, 0, 13
	v_or_b32_e32 v21, 0x1000, v18
	s_delay_alu instid0(VALU_DEP_4) | instskip(SKIP_1) | instid1(VALU_DEP_4)
	v_and_or_b32 v8, 0xffe, v15, v8
	s_mul_u64 s[6:7], s[4:5], 0x140
	v_mov_b32_e32 v11, v13
	s_delay_alu instid0(VALU_DEP_2) | instskip(SKIP_3) | instid1(VALU_DEP_4)
	v_or_b32_e32 v22, 0x1000, v8
	v_mad_co_u64_u32 v[14:15], null, s5, v51, v[0:1]
	v_lshrrev_b32_e32 v0, v19, v21
	v_lshrrev_b32_e32 v1, 16, v1
	;; [unrolled: 1-line block ×3, first 2 shown]
	v_lshlrev_b64_e32 v[10:11], 2, v[10:11]
	s_delay_alu instid0(VALU_DEP_4) | instskip(NEXT) | instid1(VALU_DEP_3)
	v_lshlrev_b32_e32 v19, v19, v0
	v_dual_mov_b32 v13, v14 :: v_dual_lshlrev_b32 v14, v20, v15
	v_lshl_or_b32 v20, v16, 12, v18
	s_delay_alu instid0(VALU_DEP_3) | instskip(NEXT) | instid1(VALU_DEP_3)
	v_cmp_ne_u32_e32 vcc_lo, v19, v21
	v_lshlrev_b64_e32 v[12:13], 2, v[12:13]
	s_wait_alu 0xfffd
	v_cndmask_b32_e64 v19, 0, 1, vcc_lo
	v_cmp_ne_u32_e32 vcc_lo, v14, v22
	s_delay_alu instid0(VALU_DEP_2) | instskip(SKIP_4) | instid1(VALU_DEP_3)
	v_or_b32_e32 v0, v0, v19
	s_wait_alu 0xfffd
	v_cndmask_b32_e64 v14, 0, 1, vcc_lo
	v_cmp_gt_i32_e32 vcc_lo, 1, v16
	v_add_nc_u32_e32 v17, 0xfffffc10, v17
	v_or_b32_e32 v14, v15, v14
	s_wait_alu 0xfffd
	v_cndmask_b32_e32 v0, v20, v0, vcc_lo
	s_delay_alu instid0(VALU_DEP_3) | instskip(SKIP_2) | instid1(VALU_DEP_2)
	v_lshl_or_b32 v19, v17, 12, v8
	v_cmp_gt_i32_e32 vcc_lo, 1, v17
	s_wait_alu 0xfffd
	v_cndmask_b32_e32 v14, v19, v14, vcc_lo
	v_cmp_ne_u32_e32 vcc_lo, 0, v18
	v_and_b32_e32 v18, 7, v0
	v_lshrrev_b32_e32 v0, 2, v0
	s_wait_alu 0xfffd
	v_cndmask_b32_e64 v15, 0, 1, vcc_lo
	v_cmp_ne_u32_e32 vcc_lo, 0, v8
	v_cmp_eq_u32_e64 s0, 3, v18
	s_delay_alu instid0(VALU_DEP_3) | instskip(SKIP_3) | instid1(VALU_DEP_2)
	v_lshl_or_b32 v15, v15, 9, 0x7c00
	s_wait_alu 0xfffd
	v_cndmask_b32_e64 v8, 0, 1, vcc_lo
	v_cmp_lt_i32_e32 vcc_lo, 5, v18
	v_lshl_or_b32 v8, v8, 9, 0x7c00
	s_or_b32 vcc_lo, s0, vcc_lo
	s_wait_alu 0xfffe
	v_add_co_ci_u32_e32 v0, vcc_lo, 0, v0, vcc_lo
	v_and_b32_e32 v19, 7, v14
	v_lshrrev_b32_e32 v14, 2, v14
	s_delay_alu instid0(VALU_DEP_2) | instskip(SKIP_1) | instid1(VALU_DEP_1)
	v_cmp_lt_i32_e64 s1, 5, v19
	v_cmp_eq_u32_e64 s2, 3, v19
	s_or_b32 vcc_lo, s2, s1
	s_wait_alu 0xfffe
	v_add_co_ci_u32_e32 v14, vcc_lo, 0, v14, vcc_lo
	v_cmp_gt_i32_e32 vcc_lo, 31, v16
	s_wait_alu 0xfffd
	v_cndmask_b32_e32 v0, 0x7c00, v0, vcc_lo
	v_cmp_gt_i32_e32 vcc_lo, 31, v17
	s_wait_alu 0xfffd
	v_cndmask_b32_e32 v14, 0x7c00, v14, vcc_lo
	v_cmp_eq_u32_e32 vcc_lo, 0x40f, v16
	s_wait_alu 0xfffd
	v_cndmask_b32_e32 v0, v0, v15, vcc_lo
	v_cmp_eq_u32_e32 vcc_lo, 0x40f, v17
	s_wait_alu 0xfffd
	v_cndmask_b32_e32 v8, v14, v8, vcc_lo
	s_delay_alu instid0(VALU_DEP_3)
	v_and_or_b32 v14, 0x8000, v1, v0
	v_add_co_u32 v0, vcc_lo, s14, v10
	s_wait_alu 0xfffd
	v_add_co_ci_u32_e32 v1, vcc_lo, s15, v11, vcc_lo
	v_and_or_b32 v10, 0x8000, v9, v8
	v_and_b32_e32 v11, 0xffff, v14
	v_add_co_u32 v8, vcc_lo, v0, v12
	s_wait_alu 0xfffd
	v_add_co_ci_u32_e32 v9, vcc_lo, v1, v13, vcc_lo
	s_delay_alu instid0(VALU_DEP_3)
	v_lshl_or_b32 v10, v10, 16, v11
	global_store_b32 v[8:9], v10, off
	global_load_b32 v12, v49, s[12:13] offset:320
	ds_load_2addr_b32 v[10:11], v53 offset0:80 offset1:160
	s_wait_dscnt 0x0
	v_lshrrev_b32_e32 v13, 16, v10
	s_wait_loadcnt 0x0
	v_lshrrev_b32_e32 v14, 16, v12
	s_delay_alu instid0(VALU_DEP_1) | instskip(SKIP_1) | instid1(VALU_DEP_2)
	v_mul_f16_e32 v15, v13, v14
	v_mul_f16_e32 v14, v10, v14
	v_fmac_f16_e32 v15, v10, v12
	s_delay_alu instid0(VALU_DEP_2) | instskip(NEXT) | instid1(VALU_DEP_2)
	v_fma_f16 v10, v12, v13, -v14
	v_cvt_f32_f16_e32 v12, v15
	s_delay_alu instid0(VALU_DEP_2) | instskip(NEXT) | instid1(VALU_DEP_2)
	v_cvt_f32_f16_e32 v10, v10
	v_cvt_f64_f32_e32 v[12:13], v12
	s_delay_alu instid0(VALU_DEP_2) | instskip(NEXT) | instid1(VALU_DEP_2)
	v_cvt_f64_f32_e32 v[14:15], v10
	v_mul_f64_e32 v[12:13], s[8:9], v[12:13]
	s_delay_alu instid0(VALU_DEP_2) | instskip(NEXT) | instid1(VALU_DEP_2)
	v_mul_f64_e32 v[14:15], s[8:9], v[14:15]
	v_and_or_b32 v10, 0x1ff, v13, v12
	s_delay_alu instid0(VALU_DEP_2)
	v_and_or_b32 v14, 0x1ff, v15, v14
	v_lshrrev_b32_e32 v12, 8, v13
	v_bfe_u32 v16, v13, 20, 11
	v_lshrrev_b32_e32 v17, 8, v15
	v_cmp_ne_u32_e32 vcc_lo, 0, v10
	v_bfe_u32 v18, v15, 20, 11
	v_lshrrev_b32_e32 v13, 16, v13
	v_sub_nc_u32_e32 v19, 0x3f1, v16
	v_add_nc_u32_e32 v16, 0xfffffc10, v16
	s_wait_alu 0xfffd
	v_cndmask_b32_e64 v10, 0, 1, vcc_lo
	v_cmp_ne_u32_e32 vcc_lo, 0, v14
	v_lshrrev_b32_e32 v15, 16, v15
	s_delay_alu instid0(VALU_DEP_3) | instskip(SKIP_4) | instid1(VALU_DEP_3)
	v_and_or_b32 v10, 0xffe, v12, v10
	s_wait_alu 0xfffd
	v_cndmask_b32_e64 v14, 0, 1, vcc_lo
	v_sub_nc_u32_e32 v12, 0x3f1, v18
	v_add_nc_u32_e32 v18, 0xfffffc10, v18
	v_and_or_b32 v14, 0xffe, v17, v14
	v_med3_i32 v17, v19, 0, 13
	v_or_b32_e32 v19, 0x1000, v10
	v_med3_i32 v12, v12, 0, 13
	s_delay_alu instid0(VALU_DEP_4) | instskip(NEXT) | instid1(VALU_DEP_3)
	v_or_b32_e32 v20, 0x1000, v14
	v_lshrrev_b32_e32 v21, v17, v19
	s_delay_alu instid0(VALU_DEP_2) | instskip(NEXT) | instid1(VALU_DEP_2)
	v_lshrrev_b32_e32 v22, v12, v20
	v_lshlrev_b32_e32 v17, v17, v21
	s_delay_alu instid0(VALU_DEP_2) | instskip(NEXT) | instid1(VALU_DEP_2)
	v_lshlrev_b32_e32 v12, v12, v22
	v_cmp_ne_u32_e32 vcc_lo, v17, v19
	v_lshl_or_b32 v19, v16, 12, v10
	s_wait_alu 0xfffd
	v_cndmask_b32_e64 v17, 0, 1, vcc_lo
	v_cmp_ne_u32_e32 vcc_lo, v12, v20
	v_lshl_or_b32 v20, v18, 12, v14
	s_delay_alu instid0(VALU_DEP_3) | instskip(SKIP_3) | instid1(VALU_DEP_2)
	v_or_b32_e32 v17, v21, v17
	s_wait_alu 0xfffd
	v_cndmask_b32_e64 v12, 0, 1, vcc_lo
	v_cmp_gt_i32_e32 vcc_lo, 1, v16
	v_or_b32_e32 v12, v22, v12
	s_wait_alu 0xfffd
	v_cndmask_b32_e32 v17, v19, v17, vcc_lo
	v_cmp_gt_i32_e32 vcc_lo, 1, v18
	s_wait_alu 0xfffd
	s_delay_alu instid0(VALU_DEP_2) | instskip(SKIP_2) | instid1(VALU_DEP_3)
	v_dual_cndmask_b32 v12, v20, v12 :: v_dual_and_b32 v19, 7, v17
	v_cmp_ne_u32_e32 vcc_lo, 0, v10
	v_lshrrev_b32_e32 v17, 2, v17
	v_cmp_eq_u32_e64 s0, 3, v19
	s_delay_alu instid0(VALU_DEP_4)
	v_and_b32_e32 v20, 7, v12
	s_wait_alu 0xfffd
	v_cndmask_b32_e64 v10, 0, 1, vcc_lo
	v_cmp_ne_u32_e32 vcc_lo, 0, v14
	v_lshrrev_b32_e32 v12, 2, v12
	v_cmp_lt_i32_e64 s1, 5, v20
	v_cmp_eq_u32_e64 s2, 3, v20
	s_wait_alu 0xfffd
	v_cndmask_b32_e64 v14, 0, 1, vcc_lo
	v_cmp_lt_i32_e32 vcc_lo, 5, v19
	v_lshl_or_b32 v10, v10, 9, 0x7c00
	s_delay_alu instid0(VALU_DEP_3)
	v_lshl_or_b32 v14, v14, 9, 0x7c00
	s_or_b32 vcc_lo, s0, vcc_lo
	s_wait_alu 0xfffe
	v_add_co_ci_u32_e32 v17, vcc_lo, 0, v17, vcc_lo
	s_or_b32 vcc_lo, s2, s1
	s_wait_alu 0xfffe
	v_add_co_ci_u32_e32 v12, vcc_lo, 0, v12, vcc_lo
	v_cmp_gt_i32_e32 vcc_lo, 31, v16
	s_wait_alu 0xfffd
	v_cndmask_b32_e32 v17, 0x7c00, v17, vcc_lo
	v_cmp_gt_i32_e32 vcc_lo, 31, v18
	s_wait_alu 0xfffd
	v_cndmask_b32_e32 v12, 0x7c00, v12, vcc_lo
	v_cmp_eq_u32_e32 vcc_lo, 0x40f, v16
	s_wait_alu 0xfffd
	v_cndmask_b32_e32 v10, v17, v10, vcc_lo
	v_cmp_eq_u32_e32 vcc_lo, 0x40f, v18
	s_delay_alu instid0(VALU_DEP_2)
	v_and_or_b32 v10, 0x8000, v13, v10
	s_wait_alu 0xfffd
	v_cndmask_b32_e32 v12, v12, v14, vcc_lo
	v_add_co_u32 v8, vcc_lo, v8, s6
	s_wait_alu 0xfffd
	v_add_co_ci_u32_e32 v9, vcc_lo, s7, v9, vcc_lo
	s_delay_alu instid0(VALU_DEP_3) | instskip(SKIP_1) | instid1(VALU_DEP_1)
	v_and_or_b32 v12, 0x8000, v15, v12
	v_and_b32_e32 v10, 0xffff, v10
	v_lshl_or_b32 v10, v12, 16, v10
	v_lshrrev_b32_e32 v12, 16, v11
	global_store_b32 v[8:9], v10, off
	global_load_b32 v10, v49, s[12:13] offset:640
	s_wait_loadcnt 0x0
	v_lshrrev_b32_e32 v13, 16, v10
	s_delay_alu instid0(VALU_DEP_1) | instskip(SKIP_1) | instid1(VALU_DEP_2)
	v_mul_f16_e32 v14, v12, v13
	v_mul_f16_e32 v13, v11, v13
	v_fmac_f16_e32 v14, v11, v10
	s_delay_alu instid0(VALU_DEP_2) | instskip(NEXT) | instid1(VALU_DEP_2)
	v_fma_f16 v10, v10, v12, -v13
	v_cvt_f32_f16_e32 v11, v14
	s_delay_alu instid0(VALU_DEP_2) | instskip(NEXT) | instid1(VALU_DEP_2)
	v_cvt_f32_f16_e32 v12, v10
	v_cvt_f64_f32_e32 v[10:11], v11
	s_delay_alu instid0(VALU_DEP_2) | instskip(NEXT) | instid1(VALU_DEP_2)
	v_cvt_f64_f32_e32 v[12:13], v12
	v_mul_f64_e32 v[10:11], s[8:9], v[10:11]
	s_delay_alu instid0(VALU_DEP_2) | instskip(NEXT) | instid1(VALU_DEP_2)
	v_mul_f64_e32 v[12:13], s[8:9], v[12:13]
	v_and_or_b32 v10, 0x1ff, v11, v10
	s_delay_alu instid0(VALU_DEP_2)
	v_and_or_b32 v12, 0x1ff, v13, v12
	v_lshrrev_b32_e32 v14, 8, v11
	v_bfe_u32 v15, v11, 20, 11
	v_lshrrev_b32_e32 v16, 8, v13
	v_cmp_ne_u32_e32 vcc_lo, 0, v10
	v_bfe_u32 v17, v13, 20, 11
	v_lshrrev_b32_e32 v11, 16, v11
	v_sub_nc_u32_e32 v18, 0x3f1, v15
	v_add_nc_u32_e32 v15, 0xfffffc10, v15
	s_wait_alu 0xfffd
	v_cndmask_b32_e64 v10, 0, 1, vcc_lo
	v_cmp_ne_u32_e32 vcc_lo, 0, v12
	v_lshrrev_b32_e32 v13, 16, v13
	s_delay_alu instid0(VALU_DEP_3) | instskip(SKIP_4) | instid1(VALU_DEP_3)
	v_and_or_b32 v10, 0xffe, v14, v10
	s_wait_alu 0xfffd
	v_cndmask_b32_e64 v12, 0, 1, vcc_lo
	v_sub_nc_u32_e32 v14, 0x3f1, v17
	v_add_nc_u32_e32 v17, 0xfffffc10, v17
	v_and_or_b32 v12, 0xffe, v16, v12
	v_med3_i32 v16, v18, 0, 13
	v_or_b32_e32 v18, 0x1000, v10
	v_med3_i32 v14, v14, 0, 13
	s_delay_alu instid0(VALU_DEP_4) | instskip(NEXT) | instid1(VALU_DEP_3)
	v_or_b32_e32 v19, 0x1000, v12
	v_lshrrev_b32_e32 v20, v16, v18
	s_delay_alu instid0(VALU_DEP_2) | instskip(NEXT) | instid1(VALU_DEP_2)
	v_lshrrev_b32_e32 v21, v14, v19
	v_lshlrev_b32_e32 v16, v16, v20
	s_delay_alu instid0(VALU_DEP_2) | instskip(NEXT) | instid1(VALU_DEP_2)
	v_lshlrev_b32_e32 v14, v14, v21
	v_cmp_ne_u32_e32 vcc_lo, v16, v18
	v_lshl_or_b32 v18, v15, 12, v10
	s_wait_alu 0xfffd
	v_cndmask_b32_e64 v16, 0, 1, vcc_lo
	v_cmp_ne_u32_e32 vcc_lo, v14, v19
	v_lshl_or_b32 v19, v17, 12, v12
	s_delay_alu instid0(VALU_DEP_3) | instskip(SKIP_3) | instid1(VALU_DEP_2)
	v_or_b32_e32 v16, v20, v16
	s_wait_alu 0xfffd
	v_cndmask_b32_e64 v14, 0, 1, vcc_lo
	v_cmp_gt_i32_e32 vcc_lo, 1, v15
	v_or_b32_e32 v14, v21, v14
	s_wait_alu 0xfffd
	v_cndmask_b32_e32 v16, v18, v16, vcc_lo
	v_cmp_gt_i32_e32 vcc_lo, 1, v17
	s_delay_alu instid0(VALU_DEP_2)
	v_and_b32_e32 v18, 7, v16
	s_wait_alu 0xfffd
	v_cndmask_b32_e32 v14, v19, v14, vcc_lo
	v_cmp_ne_u32_e32 vcc_lo, 0, v10
	v_lshrrev_b32_e32 v16, 2, v16
	v_cmp_eq_u32_e64 s0, 3, v18
	s_delay_alu instid0(VALU_DEP_4)
	v_and_b32_e32 v19, 7, v14
	s_wait_alu 0xfffd
	v_cndmask_b32_e64 v10, 0, 1, vcc_lo
	v_cmp_ne_u32_e32 vcc_lo, 0, v12
	v_lshrrev_b32_e32 v14, 2, v14
	v_cmp_lt_i32_e64 s1, 5, v19
	v_cmp_eq_u32_e64 s2, 3, v19
	s_wait_alu 0xfffd
	v_cndmask_b32_e64 v12, 0, 1, vcc_lo
	v_cmp_lt_i32_e32 vcc_lo, 5, v18
	v_lshl_or_b32 v10, v10, 9, 0x7c00
	s_delay_alu instid0(VALU_DEP_3)
	v_lshl_or_b32 v12, v12, 9, 0x7c00
	s_or_b32 vcc_lo, s0, vcc_lo
	s_wait_alu 0xfffe
	v_add_co_ci_u32_e32 v16, vcc_lo, 0, v16, vcc_lo
	s_or_b32 vcc_lo, s2, s1
	s_wait_alu 0xfffe
	v_add_co_ci_u32_e32 v14, vcc_lo, 0, v14, vcc_lo
	v_cmp_gt_i32_e32 vcc_lo, 31, v15
	s_wait_alu 0xfffd
	v_cndmask_b32_e32 v16, 0x7c00, v16, vcc_lo
	v_cmp_gt_i32_e32 vcc_lo, 31, v17
	s_wait_alu 0xfffd
	v_cndmask_b32_e32 v14, 0x7c00, v14, vcc_lo
	v_cmp_eq_u32_e32 vcc_lo, 0x40f, v15
	s_wait_alu 0xfffd
	v_cndmask_b32_e32 v10, v16, v10, vcc_lo
	v_cmp_eq_u32_e32 vcc_lo, 0x40f, v17
	s_delay_alu instid0(VALU_DEP_2)
	v_and_or_b32 v10, 0x8000, v11, v10
	s_wait_alu 0xfffd
	v_cndmask_b32_e32 v12, v14, v12, vcc_lo
	v_add_co_u32 v8, vcc_lo, v8, s6
	s_wait_alu 0xfffd
	v_add_co_ci_u32_e32 v9, vcc_lo, s7, v9, vcc_lo
	s_delay_alu instid0(VALU_DEP_3) | instskip(SKIP_1) | instid1(VALU_DEP_1)
	v_and_or_b32 v11, 0x8000, v13, v12
	v_and_b32_e32 v10, 0xffff, v10
	v_lshl_or_b32 v10, v11, 16, v10
	global_store_b32 v[8:9], v10, off
	global_load_b32 v12, v49, s[12:13] offset:960
	ds_load_2addr_b32 v[10:11], v7 offset0:112 offset1:192
	s_wait_dscnt 0x0
	v_lshrrev_b32_e32 v7, 16, v10
	s_wait_loadcnt 0x0
	v_lshrrev_b32_e32 v13, 16, v12
	s_delay_alu instid0(VALU_DEP_1) | instskip(SKIP_1) | instid1(VALU_DEP_2)
	v_mul_f16_e32 v14, v7, v13
	v_mul_f16_e32 v13, v10, v13
	v_fmac_f16_e32 v14, v10, v12
	s_delay_alu instid0(VALU_DEP_2) | instskip(NEXT) | instid1(VALU_DEP_2)
	v_fma_f16 v7, v12, v7, -v13
	v_cvt_f32_f16_e32 v10, v14
	s_delay_alu instid0(VALU_DEP_2) | instskip(NEXT) | instid1(VALU_DEP_2)
	v_cvt_f32_f16_e32 v7, v7
	v_cvt_f64_f32_e32 v[12:13], v10
	s_delay_alu instid0(VALU_DEP_2) | instskip(NEXT) | instid1(VALU_DEP_2)
	v_cvt_f64_f32_e32 v[14:15], v7
	v_mul_f64_e32 v[12:13], s[8:9], v[12:13]
	s_delay_alu instid0(VALU_DEP_2) | instskip(NEXT) | instid1(VALU_DEP_2)
	v_mul_f64_e32 v[14:15], s[8:9], v[14:15]
	v_and_or_b32 v7, 0x1ff, v13, v12
	s_delay_alu instid0(VALU_DEP_2)
	v_and_or_b32 v14, 0x1ff, v15, v14
	v_lshrrev_b32_e32 v10, 8, v13
	v_bfe_u32 v12, v13, 20, 11
	v_lshrrev_b32_e32 v16, 8, v15
	v_cmp_ne_u32_e32 vcc_lo, 0, v7
	v_bfe_u32 v17, v15, 20, 11
	v_lshrrev_b32_e32 v13, 16, v13
	v_sub_nc_u32_e32 v18, 0x3f1, v12
	v_add_nc_u32_e32 v12, 0xfffffc10, v12
	s_wait_alu 0xfffd
	v_cndmask_b32_e64 v7, 0, 1, vcc_lo
	v_cmp_ne_u32_e32 vcc_lo, 0, v14
	s_delay_alu instid0(VALU_DEP_2) | instskip(SKIP_4) | instid1(VALU_DEP_3)
	v_and_or_b32 v7, 0xffe, v10, v7
	s_wait_alu 0xfffd
	v_cndmask_b32_e64 v14, 0, 1, vcc_lo
	v_sub_nc_u32_e32 v10, 0x3f1, v17
	v_add_nc_u32_e32 v17, 0xfffffc10, v17
	v_and_or_b32 v14, 0xffe, v16, v14
	v_med3_i32 v16, v18, 0, 13
	v_or_b32_e32 v18, 0x1000, v7
	v_med3_i32 v10, v10, 0, 13
	s_delay_alu instid0(VALU_DEP_4) | instskip(NEXT) | instid1(VALU_DEP_3)
	v_or_b32_e32 v19, 0x1000, v14
	v_lshrrev_b32_e32 v20, v16, v18
	s_delay_alu instid0(VALU_DEP_2) | instskip(NEXT) | instid1(VALU_DEP_2)
	v_lshrrev_b32_e32 v21, v10, v19
	v_lshlrev_b32_e32 v16, v16, v20
	s_delay_alu instid0(VALU_DEP_2) | instskip(NEXT) | instid1(VALU_DEP_2)
	v_lshlrev_b32_e32 v10, v10, v21
	v_cmp_ne_u32_e32 vcc_lo, v16, v18
	v_lshl_or_b32 v18, v12, 12, v7
	s_wait_alu 0xfffd
	v_cndmask_b32_e64 v16, 0, 1, vcc_lo
	v_cmp_ne_u32_e32 vcc_lo, v10, v19
	v_lshl_or_b32 v19, v17, 12, v14
	s_delay_alu instid0(VALU_DEP_3) | instskip(SKIP_3) | instid1(VALU_DEP_2)
	v_or_b32_e32 v16, v20, v16
	s_wait_alu 0xfffd
	v_cndmask_b32_e64 v10, 0, 1, vcc_lo
	v_cmp_gt_i32_e32 vcc_lo, 1, v12
	v_or_b32_e32 v10, v21, v10
	s_wait_alu 0xfffd
	v_cndmask_b32_e32 v16, v18, v16, vcc_lo
	v_cmp_gt_i32_e32 vcc_lo, 1, v17
	s_delay_alu instid0(VALU_DEP_2)
	v_and_b32_e32 v18, 7, v16
	s_wait_alu 0xfffd
	v_cndmask_b32_e32 v10, v19, v10, vcc_lo
	v_cmp_ne_u32_e32 vcc_lo, 0, v7
	v_lshrrev_b32_e32 v16, 2, v16
	v_cmp_eq_u32_e64 s0, 3, v18
	s_delay_alu instid0(VALU_DEP_4)
	v_and_b32_e32 v19, 7, v10
	s_wait_alu 0xfffd
	v_cndmask_b32_e64 v7, 0, 1, vcc_lo
	v_cmp_ne_u32_e32 vcc_lo, 0, v14
	v_lshrrev_b32_e32 v10, 2, v10
	v_cmp_lt_i32_e64 s1, 5, v19
	v_cmp_eq_u32_e64 s2, 3, v19
	s_wait_alu 0xfffd
	v_cndmask_b32_e64 v14, 0, 1, vcc_lo
	v_cmp_lt_i32_e32 vcc_lo, 5, v18
	v_lshl_or_b32 v7, v7, 9, 0x7c00
	s_delay_alu instid0(VALU_DEP_3)
	v_lshl_or_b32 v14, v14, 9, 0x7c00
	s_or_b32 vcc_lo, s0, vcc_lo
	s_wait_alu 0xfffe
	v_add_co_ci_u32_e32 v16, vcc_lo, 0, v16, vcc_lo
	s_or_b32 vcc_lo, s2, s1
	s_wait_alu 0xfffe
	v_add_co_ci_u32_e32 v10, vcc_lo, 0, v10, vcc_lo
	v_cmp_gt_i32_e32 vcc_lo, 31, v12
	s_wait_alu 0xfffd
	v_cndmask_b32_e32 v16, 0x7c00, v16, vcc_lo
	v_cmp_gt_i32_e32 vcc_lo, 31, v17
	s_wait_alu 0xfffd
	v_cndmask_b32_e32 v10, 0x7c00, v10, vcc_lo
	v_cmp_eq_u32_e32 vcc_lo, 0x40f, v12
	v_lshrrev_b32_e32 v12, 16, v15
	s_wait_alu 0xfffd
	v_cndmask_b32_e32 v7, v16, v7, vcc_lo
	v_cmp_eq_u32_e32 vcc_lo, 0x40f, v17
	s_delay_alu instid0(VALU_DEP_2) | instskip(SKIP_2) | instid1(VALU_DEP_1)
	v_and_or_b32 v7, 0x8000, v13, v7
	s_wait_alu 0xfffd
	v_cndmask_b32_e32 v10, v10, v14, vcc_lo
	v_and_or_b32 v10, 0x8000, v12, v10
	s_delay_alu instid0(VALU_DEP_3) | instskip(SKIP_3) | instid1(VALU_DEP_3)
	v_and_b32_e32 v12, 0xffff, v7
	v_add_co_u32 v7, vcc_lo, v8, s6
	s_wait_alu 0xfffd
	v_add_co_ci_u32_e32 v8, vcc_lo, s7, v9, vcc_lo
	v_lshl_or_b32 v9, v10, 16, v12
	v_lshrrev_b32_e32 v10, 16, v11
	global_store_b32 v[7:8], v9, off
	global_load_b32 v9, v49, s[12:13] offset:1280
	s_wait_loadcnt 0x0
	v_lshrrev_b32_e32 v12, 16, v9
	s_delay_alu instid0(VALU_DEP_1) | instskip(SKIP_1) | instid1(VALU_DEP_2)
	v_mul_f16_e32 v13, v10, v12
	v_mul_f16_e32 v12, v11, v12
	v_fmac_f16_e32 v13, v11, v9
	s_delay_alu instid0(VALU_DEP_2) | instskip(NEXT) | instid1(VALU_DEP_2)
	v_fma_f16 v9, v9, v10, -v12
	v_cvt_f32_f16_e32 v10, v13
	s_delay_alu instid0(VALU_DEP_2) | instskip(NEXT) | instid1(VALU_DEP_2)
	v_cvt_f32_f16_e32 v11, v9
	v_cvt_f64_f32_e32 v[9:10], v10
	s_delay_alu instid0(VALU_DEP_2) | instskip(NEXT) | instid1(VALU_DEP_2)
	v_cvt_f64_f32_e32 v[11:12], v11
	v_mul_f64_e32 v[9:10], s[8:9], v[9:10]
	s_delay_alu instid0(VALU_DEP_2) | instskip(NEXT) | instid1(VALU_DEP_2)
	v_mul_f64_e32 v[11:12], s[8:9], v[11:12]
	v_and_or_b32 v9, 0x1ff, v10, v9
	s_delay_alu instid0(VALU_DEP_2)
	v_and_or_b32 v11, 0x1ff, v12, v11
	v_lshrrev_b32_e32 v13, 8, v10
	v_bfe_u32 v14, v10, 20, 11
	v_lshrrev_b32_e32 v15, 8, v12
	v_cmp_ne_u32_e32 vcc_lo, 0, v9
	v_bfe_u32 v16, v12, 20, 11
	v_lshrrev_b32_e32 v10, 16, v10
	v_sub_nc_u32_e32 v17, 0x3f1, v14
	v_add_nc_u32_e32 v14, 0xfffffc10, v14
	s_wait_alu 0xfffd
	v_cndmask_b32_e64 v9, 0, 1, vcc_lo
	v_cmp_ne_u32_e32 vcc_lo, 0, v11
	v_lshrrev_b32_e32 v12, 16, v12
	s_delay_alu instid0(VALU_DEP_3) | instskip(SKIP_4) | instid1(VALU_DEP_3)
	v_and_or_b32 v9, 0xffe, v13, v9
	s_wait_alu 0xfffd
	v_cndmask_b32_e64 v11, 0, 1, vcc_lo
	v_sub_nc_u32_e32 v13, 0x3f1, v16
	v_add_nc_u32_e32 v16, 0xfffffc10, v16
	v_and_or_b32 v11, 0xffe, v15, v11
	v_med3_i32 v15, v17, 0, 13
	v_or_b32_e32 v17, 0x1000, v9
	v_med3_i32 v13, v13, 0, 13
	s_delay_alu instid0(VALU_DEP_4) | instskip(NEXT) | instid1(VALU_DEP_3)
	v_or_b32_e32 v18, 0x1000, v11
	v_lshrrev_b32_e32 v19, v15, v17
	s_delay_alu instid0(VALU_DEP_2) | instskip(NEXT) | instid1(VALU_DEP_2)
	v_lshrrev_b32_e32 v20, v13, v18
	v_lshlrev_b32_e32 v15, v15, v19
	s_delay_alu instid0(VALU_DEP_2) | instskip(NEXT) | instid1(VALU_DEP_2)
	v_lshlrev_b32_e32 v13, v13, v20
	v_cmp_ne_u32_e32 vcc_lo, v15, v17
	v_lshl_or_b32 v17, v14, 12, v9
	s_wait_alu 0xfffd
	v_cndmask_b32_e64 v15, 0, 1, vcc_lo
	v_cmp_ne_u32_e32 vcc_lo, v13, v18
	v_lshl_or_b32 v18, v16, 12, v11
	s_delay_alu instid0(VALU_DEP_3) | instskip(SKIP_3) | instid1(VALU_DEP_2)
	v_or_b32_e32 v15, v19, v15
	s_wait_alu 0xfffd
	v_cndmask_b32_e64 v13, 0, 1, vcc_lo
	v_cmp_gt_i32_e32 vcc_lo, 1, v14
	v_or_b32_e32 v13, v20, v13
	s_wait_alu 0xfffd
	v_cndmask_b32_e32 v15, v17, v15, vcc_lo
	v_cmp_gt_i32_e32 vcc_lo, 1, v16
	s_delay_alu instid0(VALU_DEP_2)
	v_and_b32_e32 v17, 7, v15
	s_wait_alu 0xfffd
	v_cndmask_b32_e32 v13, v18, v13, vcc_lo
	v_cmp_ne_u32_e32 vcc_lo, 0, v9
	v_lshrrev_b32_e32 v15, 2, v15
	v_cmp_eq_u32_e64 s0, 3, v17
	s_delay_alu instid0(VALU_DEP_4)
	v_and_b32_e32 v18, 7, v13
	s_wait_alu 0xfffd
	v_cndmask_b32_e64 v9, 0, 1, vcc_lo
	v_cmp_ne_u32_e32 vcc_lo, 0, v11
	v_lshrrev_b32_e32 v13, 2, v13
	v_cmp_lt_i32_e64 s1, 5, v18
	v_cmp_eq_u32_e64 s2, 3, v18
	s_wait_alu 0xfffd
	v_cndmask_b32_e64 v11, 0, 1, vcc_lo
	v_cmp_lt_i32_e32 vcc_lo, 5, v17
	v_lshl_or_b32 v9, v9, 9, 0x7c00
	s_delay_alu instid0(VALU_DEP_3)
	v_lshl_or_b32 v11, v11, 9, 0x7c00
	s_or_b32 vcc_lo, s0, vcc_lo
	s_wait_alu 0xfffe
	v_add_co_ci_u32_e32 v15, vcc_lo, 0, v15, vcc_lo
	s_or_b32 vcc_lo, s2, s1
	s_wait_alu 0xfffe
	v_add_co_ci_u32_e32 v13, vcc_lo, 0, v13, vcc_lo
	v_cmp_gt_i32_e32 vcc_lo, 31, v14
	s_wait_alu 0xfffd
	v_cndmask_b32_e32 v15, 0x7c00, v15, vcc_lo
	v_cmp_gt_i32_e32 vcc_lo, 31, v16
	s_wait_alu 0xfffd
	v_cndmask_b32_e32 v13, 0x7c00, v13, vcc_lo
	v_cmp_eq_u32_e32 vcc_lo, 0x40f, v14
	s_wait_alu 0xfffd
	v_cndmask_b32_e32 v9, v15, v9, vcc_lo
	v_cmp_eq_u32_e32 vcc_lo, 0x40f, v16
	s_delay_alu instid0(VALU_DEP_2)
	v_and_or_b32 v9, 0x8000, v10, v9
	s_wait_alu 0xfffd
	v_cndmask_b32_e32 v11, v13, v11, vcc_lo
	v_add_co_u32 v7, vcc_lo, v7, s6
	s_wait_alu 0xfffd
	v_add_co_ci_u32_e32 v8, vcc_lo, s7, v8, vcc_lo
	s_delay_alu instid0(VALU_DEP_3) | instskip(SKIP_1) | instid1(VALU_DEP_1)
	v_and_or_b32 v10, 0x8000, v12, v11
	v_and_b32_e32 v9, 0xffff, v9
	v_lshl_or_b32 v9, v10, 16, v9
	global_store_b32 v[7:8], v9, off
	global_load_b32 v11, v49, s[12:13] offset:1600
	ds_load_2addr_b32 v[9:10], v6 offset0:144 offset1:224
	s_wait_dscnt 0x0
	v_lshrrev_b32_e32 v6, 16, v9
	s_wait_loadcnt 0x0
	v_lshrrev_b32_e32 v12, 16, v11
	s_delay_alu instid0(VALU_DEP_1) | instskip(SKIP_1) | instid1(VALU_DEP_2)
	v_mul_f16_e32 v13, v6, v12
	v_mul_f16_e32 v12, v9, v12
	v_fmac_f16_e32 v13, v9, v11
	s_delay_alu instid0(VALU_DEP_2) | instskip(NEXT) | instid1(VALU_DEP_2)
	v_fma_f16 v6, v11, v6, -v12
	v_cvt_f32_f16_e32 v9, v13
	s_delay_alu instid0(VALU_DEP_2) | instskip(NEXT) | instid1(VALU_DEP_2)
	v_cvt_f32_f16_e32 v6, v6
	v_cvt_f64_f32_e32 v[11:12], v9
	s_delay_alu instid0(VALU_DEP_2) | instskip(NEXT) | instid1(VALU_DEP_2)
	v_cvt_f64_f32_e32 v[13:14], v6
	v_mul_f64_e32 v[11:12], s[8:9], v[11:12]
	s_delay_alu instid0(VALU_DEP_2) | instskip(NEXT) | instid1(VALU_DEP_2)
	v_mul_f64_e32 v[13:14], s[8:9], v[13:14]
	v_and_or_b32 v6, 0x1ff, v12, v11
	s_delay_alu instid0(VALU_DEP_2)
	v_and_or_b32 v13, 0x1ff, v14, v13
	v_lshrrev_b32_e32 v9, 8, v12
	v_bfe_u32 v11, v12, 20, 11
	v_lshrrev_b32_e32 v15, 8, v14
	v_cmp_ne_u32_e32 vcc_lo, 0, v6
	v_bfe_u32 v16, v14, 20, 11
	v_lshrrev_b32_e32 v12, 16, v12
	v_sub_nc_u32_e32 v17, 0x3f1, v11
	v_add_nc_u32_e32 v11, 0xfffffc10, v11
	s_wait_alu 0xfffd
	v_cndmask_b32_e64 v6, 0, 1, vcc_lo
	v_cmp_ne_u32_e32 vcc_lo, 0, v13
	s_delay_alu instid0(VALU_DEP_2) | instskip(SKIP_4) | instid1(VALU_DEP_3)
	v_and_or_b32 v6, 0xffe, v9, v6
	s_wait_alu 0xfffd
	v_cndmask_b32_e64 v13, 0, 1, vcc_lo
	v_sub_nc_u32_e32 v9, 0x3f1, v16
	v_add_nc_u32_e32 v16, 0xfffffc10, v16
	v_and_or_b32 v13, 0xffe, v15, v13
	v_med3_i32 v15, v17, 0, 13
	v_or_b32_e32 v17, 0x1000, v6
	v_med3_i32 v9, v9, 0, 13
	s_delay_alu instid0(VALU_DEP_4) | instskip(NEXT) | instid1(VALU_DEP_3)
	v_or_b32_e32 v18, 0x1000, v13
	v_lshrrev_b32_e32 v19, v15, v17
	s_delay_alu instid0(VALU_DEP_2) | instskip(NEXT) | instid1(VALU_DEP_2)
	v_lshrrev_b32_e32 v20, v9, v18
	v_lshlrev_b32_e32 v15, v15, v19
	s_delay_alu instid0(VALU_DEP_2) | instskip(NEXT) | instid1(VALU_DEP_2)
	v_lshlrev_b32_e32 v9, v9, v20
	v_cmp_ne_u32_e32 vcc_lo, v15, v17
	v_lshl_or_b32 v17, v11, 12, v6
	s_wait_alu 0xfffd
	v_cndmask_b32_e64 v15, 0, 1, vcc_lo
	v_cmp_ne_u32_e32 vcc_lo, v9, v18
	v_lshl_or_b32 v18, v16, 12, v13
	s_delay_alu instid0(VALU_DEP_3) | instskip(SKIP_3) | instid1(VALU_DEP_2)
	v_or_b32_e32 v15, v19, v15
	s_wait_alu 0xfffd
	v_cndmask_b32_e64 v9, 0, 1, vcc_lo
	v_cmp_gt_i32_e32 vcc_lo, 1, v11
	v_or_b32_e32 v9, v20, v9
	s_wait_alu 0xfffd
	v_cndmask_b32_e32 v15, v17, v15, vcc_lo
	v_cmp_gt_i32_e32 vcc_lo, 1, v16
	s_delay_alu instid0(VALU_DEP_2)
	v_and_b32_e32 v17, 7, v15
	s_wait_alu 0xfffd
	v_cndmask_b32_e32 v9, v18, v9, vcc_lo
	v_cmp_ne_u32_e32 vcc_lo, 0, v6
	v_lshrrev_b32_e32 v15, 2, v15
	v_cmp_eq_u32_e64 s0, 3, v17
	s_delay_alu instid0(VALU_DEP_4)
	v_and_b32_e32 v18, 7, v9
	s_wait_alu 0xfffd
	v_cndmask_b32_e64 v6, 0, 1, vcc_lo
	v_cmp_ne_u32_e32 vcc_lo, 0, v13
	v_lshrrev_b32_e32 v9, 2, v9
	v_cmp_lt_i32_e64 s1, 5, v18
	v_cmp_eq_u32_e64 s2, 3, v18
	s_wait_alu 0xfffd
	v_cndmask_b32_e64 v13, 0, 1, vcc_lo
	v_cmp_lt_i32_e32 vcc_lo, 5, v17
	v_lshl_or_b32 v6, v6, 9, 0x7c00
	s_delay_alu instid0(VALU_DEP_3)
	v_lshl_or_b32 v13, v13, 9, 0x7c00
	s_or_b32 vcc_lo, s0, vcc_lo
	s_wait_alu 0xfffe
	v_add_co_ci_u32_e32 v15, vcc_lo, 0, v15, vcc_lo
	s_or_b32 vcc_lo, s2, s1
	s_wait_alu 0xfffe
	v_add_co_ci_u32_e32 v9, vcc_lo, 0, v9, vcc_lo
	v_cmp_gt_i32_e32 vcc_lo, 31, v11
	s_wait_alu 0xfffd
	v_cndmask_b32_e32 v15, 0x7c00, v15, vcc_lo
	v_cmp_gt_i32_e32 vcc_lo, 31, v16
	s_wait_alu 0xfffd
	v_cndmask_b32_e32 v9, 0x7c00, v9, vcc_lo
	v_cmp_eq_u32_e32 vcc_lo, 0x40f, v11
	v_lshrrev_b32_e32 v11, 16, v14
	s_wait_alu 0xfffd
	v_cndmask_b32_e32 v6, v15, v6, vcc_lo
	v_cmp_eq_u32_e32 vcc_lo, 0x40f, v16
	s_delay_alu instid0(VALU_DEP_2) | instskip(SKIP_2) | instid1(VALU_DEP_1)
	v_and_or_b32 v6, 0x8000, v12, v6
	s_wait_alu 0xfffd
	v_cndmask_b32_e32 v9, v9, v13, vcc_lo
	v_and_or_b32 v9, 0x8000, v11, v9
	s_delay_alu instid0(VALU_DEP_3) | instskip(SKIP_3) | instid1(VALU_DEP_3)
	v_and_b32_e32 v11, 0xffff, v6
	v_add_co_u32 v6, vcc_lo, v7, s6
	s_wait_alu 0xfffd
	v_add_co_ci_u32_e32 v7, vcc_lo, s7, v8, vcc_lo
	v_lshl_or_b32 v8, v9, 16, v11
	v_lshrrev_b32_e32 v9, 16, v10
	global_store_b32 v[6:7], v8, off
	global_load_b32 v8, v49, s[12:13] offset:1920
	s_wait_loadcnt 0x0
	v_lshrrev_b32_e32 v11, 16, v8
	s_delay_alu instid0(VALU_DEP_1) | instskip(SKIP_1) | instid1(VALU_DEP_2)
	v_mul_f16_e32 v12, v9, v11
	v_mul_f16_e32 v11, v10, v11
	v_fmac_f16_e32 v12, v10, v8
	s_delay_alu instid0(VALU_DEP_2) | instskip(NEXT) | instid1(VALU_DEP_2)
	v_fma_f16 v8, v8, v9, -v11
	v_cvt_f32_f16_e32 v9, v12
	s_delay_alu instid0(VALU_DEP_2) | instskip(NEXT) | instid1(VALU_DEP_2)
	v_cvt_f32_f16_e32 v10, v8
	v_cvt_f64_f32_e32 v[8:9], v9
	s_delay_alu instid0(VALU_DEP_2) | instskip(NEXT) | instid1(VALU_DEP_2)
	v_cvt_f64_f32_e32 v[10:11], v10
	v_mul_f64_e32 v[8:9], s[8:9], v[8:9]
	s_delay_alu instid0(VALU_DEP_2) | instskip(NEXT) | instid1(VALU_DEP_2)
	v_mul_f64_e32 v[10:11], s[8:9], v[10:11]
	v_and_or_b32 v8, 0x1ff, v9, v8
	s_delay_alu instid0(VALU_DEP_2)
	v_and_or_b32 v10, 0x1ff, v11, v10
	v_lshrrev_b32_e32 v12, 8, v9
	v_bfe_u32 v13, v9, 20, 11
	v_lshrrev_b32_e32 v14, 8, v11
	v_cmp_ne_u32_e32 vcc_lo, 0, v8
	v_bfe_u32 v15, v11, 20, 11
	v_lshrrev_b32_e32 v9, 16, v9
	v_sub_nc_u32_e32 v16, 0x3f1, v13
	v_add_nc_u32_e32 v13, 0xfffffc10, v13
	s_wait_alu 0xfffd
	v_cndmask_b32_e64 v8, 0, 1, vcc_lo
	v_cmp_ne_u32_e32 vcc_lo, 0, v10
	v_lshrrev_b32_e32 v11, 16, v11
	s_delay_alu instid0(VALU_DEP_3) | instskip(SKIP_4) | instid1(VALU_DEP_3)
	v_and_or_b32 v8, 0xffe, v12, v8
	s_wait_alu 0xfffd
	v_cndmask_b32_e64 v10, 0, 1, vcc_lo
	v_sub_nc_u32_e32 v12, 0x3f1, v15
	v_add_nc_u32_e32 v15, 0xfffffc10, v15
	v_and_or_b32 v10, 0xffe, v14, v10
	v_med3_i32 v14, v16, 0, 13
	v_or_b32_e32 v16, 0x1000, v8
	v_med3_i32 v12, v12, 0, 13
	s_delay_alu instid0(VALU_DEP_4) | instskip(NEXT) | instid1(VALU_DEP_3)
	v_or_b32_e32 v17, 0x1000, v10
	v_lshrrev_b32_e32 v18, v14, v16
	s_delay_alu instid0(VALU_DEP_2) | instskip(NEXT) | instid1(VALU_DEP_2)
	v_lshrrev_b32_e32 v19, v12, v17
	v_lshlrev_b32_e32 v14, v14, v18
	s_delay_alu instid0(VALU_DEP_2) | instskip(NEXT) | instid1(VALU_DEP_2)
	v_lshlrev_b32_e32 v12, v12, v19
	v_cmp_ne_u32_e32 vcc_lo, v14, v16
	v_lshl_or_b32 v16, v13, 12, v8
	s_wait_alu 0xfffd
	v_cndmask_b32_e64 v14, 0, 1, vcc_lo
	v_cmp_ne_u32_e32 vcc_lo, v12, v17
	v_lshl_or_b32 v17, v15, 12, v10
	s_delay_alu instid0(VALU_DEP_3) | instskip(SKIP_3) | instid1(VALU_DEP_2)
	v_or_b32_e32 v14, v18, v14
	s_wait_alu 0xfffd
	v_cndmask_b32_e64 v12, 0, 1, vcc_lo
	v_cmp_gt_i32_e32 vcc_lo, 1, v13
	v_or_b32_e32 v12, v19, v12
	s_wait_alu 0xfffd
	v_cndmask_b32_e32 v14, v16, v14, vcc_lo
	v_cmp_gt_i32_e32 vcc_lo, 1, v15
	s_delay_alu instid0(VALU_DEP_2)
	v_and_b32_e32 v16, 7, v14
	s_wait_alu 0xfffd
	v_cndmask_b32_e32 v12, v17, v12, vcc_lo
	v_cmp_ne_u32_e32 vcc_lo, 0, v8
	v_lshrrev_b32_e32 v14, 2, v14
	v_cmp_eq_u32_e64 s0, 3, v16
	s_delay_alu instid0(VALU_DEP_4)
	v_and_b32_e32 v17, 7, v12
	s_wait_alu 0xfffd
	v_cndmask_b32_e64 v8, 0, 1, vcc_lo
	v_cmp_ne_u32_e32 vcc_lo, 0, v10
	v_lshrrev_b32_e32 v12, 2, v12
	v_cmp_lt_i32_e64 s1, 5, v17
	v_cmp_eq_u32_e64 s2, 3, v17
	s_wait_alu 0xfffd
	v_cndmask_b32_e64 v10, 0, 1, vcc_lo
	v_cmp_lt_i32_e32 vcc_lo, 5, v16
	v_lshl_or_b32 v8, v8, 9, 0x7c00
	s_delay_alu instid0(VALU_DEP_3)
	v_lshl_or_b32 v10, v10, 9, 0x7c00
	s_or_b32 vcc_lo, s0, vcc_lo
	s_wait_alu 0xfffe
	v_add_co_ci_u32_e32 v14, vcc_lo, 0, v14, vcc_lo
	s_or_b32 vcc_lo, s2, s1
	s_wait_alu 0xfffe
	v_add_co_ci_u32_e32 v12, vcc_lo, 0, v12, vcc_lo
	v_cmp_gt_i32_e32 vcc_lo, 31, v13
	s_wait_alu 0xfffd
	v_cndmask_b32_e32 v14, 0x7c00, v14, vcc_lo
	v_cmp_gt_i32_e32 vcc_lo, 31, v15
	s_wait_alu 0xfffd
	v_cndmask_b32_e32 v12, 0x7c00, v12, vcc_lo
	v_cmp_eq_u32_e32 vcc_lo, 0x40f, v13
	s_wait_alu 0xfffd
	v_cndmask_b32_e32 v8, v14, v8, vcc_lo
	v_cmp_eq_u32_e32 vcc_lo, 0x40f, v15
	s_delay_alu instid0(VALU_DEP_2)
	v_and_or_b32 v8, 0x8000, v9, v8
	s_wait_alu 0xfffd
	v_cndmask_b32_e32 v10, v12, v10, vcc_lo
	v_add_co_u32 v6, vcc_lo, v6, s6
	s_wait_alu 0xfffd
	v_add_co_ci_u32_e32 v7, vcc_lo, s7, v7, vcc_lo
	s_delay_alu instid0(VALU_DEP_3) | instskip(SKIP_1) | instid1(VALU_DEP_1)
	v_and_or_b32 v9, 0x8000, v11, v10
	v_and_b32_e32 v8, 0xffff, v8
	v_lshl_or_b32 v8, v9, 16, v8
	global_store_b32 v[6:7], v8, off
	global_load_b32 v10, v49, s[12:13] offset:2240
	ds_load_2addr_b32 v[8:9], v5 offset0:48 offset1:128
	s_wait_dscnt 0x0
	v_lshrrev_b32_e32 v5, 16, v8
	s_wait_loadcnt 0x0
	v_lshrrev_b32_e32 v11, 16, v10
	s_delay_alu instid0(VALU_DEP_1) | instskip(SKIP_1) | instid1(VALU_DEP_2)
	v_mul_f16_e32 v12, v5, v11
	v_mul_f16_e32 v11, v8, v11
	v_fmac_f16_e32 v12, v8, v10
	s_delay_alu instid0(VALU_DEP_2) | instskip(NEXT) | instid1(VALU_DEP_2)
	v_fma_f16 v5, v10, v5, -v11
	v_cvt_f32_f16_e32 v8, v12
	s_delay_alu instid0(VALU_DEP_2) | instskip(NEXT) | instid1(VALU_DEP_2)
	v_cvt_f32_f16_e32 v5, v5
	v_cvt_f64_f32_e32 v[10:11], v8
	s_delay_alu instid0(VALU_DEP_2) | instskip(NEXT) | instid1(VALU_DEP_2)
	v_cvt_f64_f32_e32 v[12:13], v5
	v_mul_f64_e32 v[10:11], s[8:9], v[10:11]
	s_delay_alu instid0(VALU_DEP_2) | instskip(NEXT) | instid1(VALU_DEP_2)
	v_mul_f64_e32 v[12:13], s[8:9], v[12:13]
	v_and_or_b32 v5, 0x1ff, v11, v10
	s_delay_alu instid0(VALU_DEP_2)
	v_and_or_b32 v12, 0x1ff, v13, v12
	v_lshrrev_b32_e32 v8, 8, v11
	v_bfe_u32 v10, v11, 20, 11
	v_lshrrev_b32_e32 v14, 8, v13
	v_cmp_ne_u32_e32 vcc_lo, 0, v5
	v_bfe_u32 v15, v13, 20, 11
	v_lshrrev_b32_e32 v11, 16, v11
	v_sub_nc_u32_e32 v16, 0x3f1, v10
	v_add_nc_u32_e32 v10, 0xfffffc10, v10
	s_wait_alu 0xfffd
	v_cndmask_b32_e64 v5, 0, 1, vcc_lo
	v_cmp_ne_u32_e32 vcc_lo, 0, v12
	s_delay_alu instid0(VALU_DEP_2) | instskip(SKIP_4) | instid1(VALU_DEP_3)
	v_and_or_b32 v5, 0xffe, v8, v5
	s_wait_alu 0xfffd
	v_cndmask_b32_e64 v12, 0, 1, vcc_lo
	v_sub_nc_u32_e32 v8, 0x3f1, v15
	v_add_nc_u32_e32 v15, 0xfffffc10, v15
	v_and_or_b32 v12, 0xffe, v14, v12
	v_med3_i32 v14, v16, 0, 13
	v_or_b32_e32 v16, 0x1000, v5
	v_med3_i32 v8, v8, 0, 13
	s_delay_alu instid0(VALU_DEP_4) | instskip(NEXT) | instid1(VALU_DEP_3)
	v_or_b32_e32 v17, 0x1000, v12
	v_lshrrev_b32_e32 v18, v14, v16
	s_delay_alu instid0(VALU_DEP_2) | instskip(NEXT) | instid1(VALU_DEP_2)
	v_lshrrev_b32_e32 v19, v8, v17
	v_lshlrev_b32_e32 v14, v14, v18
	s_delay_alu instid0(VALU_DEP_2) | instskip(NEXT) | instid1(VALU_DEP_2)
	v_lshlrev_b32_e32 v8, v8, v19
	v_cmp_ne_u32_e32 vcc_lo, v14, v16
	v_lshl_or_b32 v16, v10, 12, v5
	s_wait_alu 0xfffd
	v_cndmask_b32_e64 v14, 0, 1, vcc_lo
	v_cmp_ne_u32_e32 vcc_lo, v8, v17
	v_lshl_or_b32 v17, v15, 12, v12
	s_delay_alu instid0(VALU_DEP_3) | instskip(SKIP_3) | instid1(VALU_DEP_2)
	v_or_b32_e32 v14, v18, v14
	s_wait_alu 0xfffd
	v_cndmask_b32_e64 v8, 0, 1, vcc_lo
	v_cmp_gt_i32_e32 vcc_lo, 1, v10
	v_or_b32_e32 v8, v19, v8
	s_wait_alu 0xfffd
	v_cndmask_b32_e32 v14, v16, v14, vcc_lo
	v_cmp_gt_i32_e32 vcc_lo, 1, v15
	s_delay_alu instid0(VALU_DEP_2)
	v_and_b32_e32 v16, 7, v14
	s_wait_alu 0xfffd
	v_cndmask_b32_e32 v8, v17, v8, vcc_lo
	v_cmp_ne_u32_e32 vcc_lo, 0, v5
	v_lshrrev_b32_e32 v14, 2, v14
	v_cmp_eq_u32_e64 s0, 3, v16
	s_delay_alu instid0(VALU_DEP_4)
	v_and_b32_e32 v17, 7, v8
	s_wait_alu 0xfffd
	v_cndmask_b32_e64 v5, 0, 1, vcc_lo
	v_cmp_ne_u32_e32 vcc_lo, 0, v12
	v_lshrrev_b32_e32 v8, 2, v8
	v_cmp_lt_i32_e64 s1, 5, v17
	v_cmp_eq_u32_e64 s2, 3, v17
	s_wait_alu 0xfffd
	v_cndmask_b32_e64 v12, 0, 1, vcc_lo
	v_cmp_lt_i32_e32 vcc_lo, 5, v16
	v_lshl_or_b32 v5, v5, 9, 0x7c00
	s_delay_alu instid0(VALU_DEP_3)
	v_lshl_or_b32 v12, v12, 9, 0x7c00
	s_or_b32 vcc_lo, s0, vcc_lo
	s_wait_alu 0xfffe
	v_add_co_ci_u32_e32 v14, vcc_lo, 0, v14, vcc_lo
	s_or_b32 vcc_lo, s2, s1
	s_wait_alu 0xfffe
	v_add_co_ci_u32_e32 v8, vcc_lo, 0, v8, vcc_lo
	v_cmp_gt_i32_e32 vcc_lo, 31, v10
	s_wait_alu 0xfffd
	v_cndmask_b32_e32 v14, 0x7c00, v14, vcc_lo
	v_cmp_gt_i32_e32 vcc_lo, 31, v15
	s_wait_alu 0xfffd
	v_cndmask_b32_e32 v8, 0x7c00, v8, vcc_lo
	v_cmp_eq_u32_e32 vcc_lo, 0x40f, v10
	v_lshrrev_b32_e32 v10, 16, v13
	s_wait_alu 0xfffd
	v_cndmask_b32_e32 v5, v14, v5, vcc_lo
	v_cmp_eq_u32_e32 vcc_lo, 0x40f, v15
	s_delay_alu instid0(VALU_DEP_2) | instskip(SKIP_2) | instid1(VALU_DEP_1)
	v_and_or_b32 v5, 0x8000, v11, v5
	s_wait_alu 0xfffd
	v_cndmask_b32_e32 v8, v8, v12, vcc_lo
	v_and_or_b32 v8, 0x8000, v10, v8
	s_delay_alu instid0(VALU_DEP_3) | instskip(SKIP_3) | instid1(VALU_DEP_3)
	v_and_b32_e32 v10, 0xffff, v5
	v_add_co_u32 v5, vcc_lo, v6, s6
	s_wait_alu 0xfffd
	v_add_co_ci_u32_e32 v6, vcc_lo, s7, v7, vcc_lo
	v_lshl_or_b32 v7, v8, 16, v10
	v_lshrrev_b32_e32 v8, 16, v9
	global_store_b32 v[5:6], v7, off
	global_load_b32 v7, v49, s[12:13] offset:2560
	s_wait_loadcnt 0x0
	v_lshrrev_b32_e32 v10, 16, v7
	s_delay_alu instid0(VALU_DEP_1) | instskip(SKIP_1) | instid1(VALU_DEP_2)
	v_mul_f16_e32 v11, v8, v10
	v_mul_f16_e32 v10, v9, v10
	v_fmac_f16_e32 v11, v9, v7
	s_delay_alu instid0(VALU_DEP_2) | instskip(NEXT) | instid1(VALU_DEP_2)
	v_fma_f16 v7, v7, v8, -v10
	v_cvt_f32_f16_e32 v8, v11
	s_delay_alu instid0(VALU_DEP_2) | instskip(NEXT) | instid1(VALU_DEP_2)
	v_cvt_f32_f16_e32 v9, v7
	v_cvt_f64_f32_e32 v[7:8], v8
	s_delay_alu instid0(VALU_DEP_2) | instskip(NEXT) | instid1(VALU_DEP_2)
	v_cvt_f64_f32_e32 v[9:10], v9
	v_mul_f64_e32 v[7:8], s[8:9], v[7:8]
	s_delay_alu instid0(VALU_DEP_2) | instskip(NEXT) | instid1(VALU_DEP_2)
	v_mul_f64_e32 v[9:10], s[8:9], v[9:10]
	v_and_or_b32 v7, 0x1ff, v8, v7
	s_delay_alu instid0(VALU_DEP_2)
	v_and_or_b32 v9, 0x1ff, v10, v9
	v_lshrrev_b32_e32 v11, 8, v8
	v_bfe_u32 v13, v8, 20, 11
	v_bfe_u32 v14, v10, 20, 11
	v_cmp_ne_u32_e32 vcc_lo, 0, v7
	v_lshrrev_b32_e32 v12, 8, v10
	v_lshrrev_b32_e32 v10, 16, v10
	v_sub_nc_u32_e32 v15, 0x3f1, v13
	v_sub_nc_u32_e32 v16, 0x3f1, v14
	s_wait_alu 0xfffd
	v_cndmask_b32_e64 v7, 0, 1, vcc_lo
	v_cmp_ne_u32_e32 vcc_lo, 0, v9
	v_add_nc_u32_e32 v14, 0xfffffc10, v14
	s_delay_alu instid0(VALU_DEP_3)
	v_and_or_b32 v17, 0xffe, v11, v7
	s_wait_alu 0xfffd
	v_cndmask_b32_e64 v9, 0, 1, vcc_lo
	v_med3_i32 v7, v15, 0, 13
	v_med3_i32 v15, v16, 0, 13
	v_or_b32_e32 v16, 0x1000, v17
	s_delay_alu instid0(VALU_DEP_4) | instskip(SKIP_1) | instid1(VALU_DEP_3)
	v_and_or_b32 v9, 0xffe, v12, v9
	v_mad_co_u64_u32 v[11:12], null, s4, v203, 0
	v_lshrrev_b32_e32 v19, v7, v16
	s_delay_alu instid0(VALU_DEP_3) | instskip(NEXT) | instid1(VALU_DEP_2)
	v_or_b32_e32 v18, 0x1000, v9
	v_lshlrev_b32_e32 v21, v7, v19
	s_delay_alu instid0(VALU_DEP_2) | instskip(SKIP_1) | instid1(VALU_DEP_3)
	v_lshrrev_b32_e32 v20, v15, v18
	v_mov_b32_e32 v7, v12
	v_cmp_ne_u32_e32 vcc_lo, v21, v16
	s_delay_alu instid0(VALU_DEP_3) | instskip(SKIP_3) | instid1(VALU_DEP_3)
	v_lshlrev_b32_e32 v12, v15, v20
	v_add_nc_u32_e32 v15, 0xfffffc10, v13
	s_wait_alu 0xfffd
	v_cndmask_b32_e64 v16, 0, 1, vcc_lo
	v_cmp_ne_u32_e32 vcc_lo, v12, v18
	v_mad_co_u64_u32 v[12:13], null, s5, v203, v[7:8]
	v_lshl_or_b32 v7, v15, 12, v17
	s_delay_alu instid0(VALU_DEP_4)
	v_or_b32_e32 v13, v19, v16
	s_wait_alu 0xfffd
	v_cndmask_b32_e64 v18, 0, 1, vcc_lo
	v_cmp_gt_i32_e32 vcc_lo, 1, v15
	v_lshl_or_b32 v16, v14, 12, v9
	v_lshrrev_b32_e32 v8, 16, v8
	s_delay_alu instid0(VALU_DEP_4)
	v_or_b32_e32 v18, v20, v18
	s_wait_alu 0xfffd
	v_cndmask_b32_e32 v7, v7, v13, vcc_lo
	v_cmp_gt_i32_e32 vcc_lo, 1, v14
	s_wait_alu 0xfffd
	v_cndmask_b32_e32 v13, v16, v18, vcc_lo
	v_cmp_ne_u32_e32 vcc_lo, 0, v17
	v_and_b32_e32 v17, 7, v7
	v_lshrrev_b32_e32 v7, 2, v7
	s_delay_alu instid0(VALU_DEP_4)
	v_and_b32_e32 v18, 7, v13
	s_wait_alu 0xfffd
	v_cndmask_b32_e64 v16, 0, 1, vcc_lo
	v_cmp_ne_u32_e32 vcc_lo, 0, v9
	v_cmp_eq_u32_e64 s0, 3, v17
	v_lshrrev_b32_e32 v13, 2, v13
	v_cmp_lt_i32_e64 s1, 5, v18
	v_cmp_eq_u32_e64 s2, 3, v18
	s_wait_alu 0xfffd
	v_cndmask_b32_e64 v9, 0, 1, vcc_lo
	v_cmp_lt_i32_e32 vcc_lo, 5, v17
	v_lshl_or_b32 v16, v16, 9, 0x7c00
	s_delay_alu instid0(VALU_DEP_3)
	v_lshl_or_b32 v9, v9, 9, 0x7c00
	s_or_b32 vcc_lo, s0, vcc_lo
	s_wait_alu 0xfffe
	v_add_co_ci_u32_e32 v7, vcc_lo, 0, v7, vcc_lo
	s_or_b32 vcc_lo, s2, s1
	s_wait_alu 0xfffe
	v_add_co_ci_u32_e32 v13, vcc_lo, 0, v13, vcc_lo
	v_cmp_gt_i32_e32 vcc_lo, 31, v15
	s_wait_alu 0xfffd
	v_cndmask_b32_e32 v7, 0x7c00, v7, vcc_lo
	v_cmp_gt_i32_e32 vcc_lo, 31, v14
	s_wait_alu 0xfffd
	v_cndmask_b32_e32 v13, 0x7c00, v13, vcc_lo
	v_cmp_eq_u32_e32 vcc_lo, 0x40f, v15
	s_wait_alu 0xfffd
	v_cndmask_b32_e32 v7, v7, v16, vcc_lo
	v_cmp_eq_u32_e32 vcc_lo, 0x40f, v14
	s_wait_alu 0xfffd
	v_cndmask_b32_e32 v9, v13, v9, vcc_lo
	s_delay_alu instid0(VALU_DEP_3) | instskip(SKIP_1) | instid1(VALU_DEP_3)
	v_and_or_b32 v13, 0x8000, v8, v7
	v_lshlrev_b64_e32 v[7:8], 2, v[11:12]
	v_and_or_b32 v9, 0x8000, v10, v9
	s_delay_alu instid0(VALU_DEP_3) | instskip(NEXT) | instid1(VALU_DEP_3)
	v_and_b32_e32 v10, 0xffff, v13
	v_add_co_u32 v7, vcc_lo, v0, v7
	s_wait_alu 0xfffd
	s_delay_alu instid0(VALU_DEP_4) | instskip(NEXT) | instid1(VALU_DEP_3)
	v_add_co_ci_u32_e32 v8, vcc_lo, v1, v8, vcc_lo
	v_lshl_or_b32 v9, v9, 16, v10
	global_store_b32 v[7:8], v9, off
	global_load_b32 v9, v49, s[12:13] offset:2880
	ds_load_2addr_b32 v[7:8], v4 offset0:80 offset1:160
	s_wait_dscnt 0x0
	v_lshrrev_b32_e32 v4, 16, v7
	s_wait_loadcnt 0x0
	v_lshrrev_b32_e32 v10, 16, v9
	s_delay_alu instid0(VALU_DEP_1) | instskip(SKIP_1) | instid1(VALU_DEP_2)
	v_mul_f16_e32 v11, v4, v10
	v_mul_f16_e32 v10, v7, v10
	v_fmac_f16_e32 v11, v7, v9
	s_delay_alu instid0(VALU_DEP_2) | instskip(NEXT) | instid1(VALU_DEP_2)
	v_fma_f16 v4, v9, v4, -v10
	v_cvt_f32_f16_e32 v7, v11
	s_delay_alu instid0(VALU_DEP_2) | instskip(NEXT) | instid1(VALU_DEP_2)
	v_cvt_f32_f16_e32 v4, v4
	v_cvt_f64_f32_e32 v[9:10], v7
	s_delay_alu instid0(VALU_DEP_2) | instskip(NEXT) | instid1(VALU_DEP_2)
	v_cvt_f64_f32_e32 v[11:12], v4
	v_mul_f64_e32 v[9:10], s[8:9], v[9:10]
	s_delay_alu instid0(VALU_DEP_2) | instskip(NEXT) | instid1(VALU_DEP_2)
	v_mul_f64_e32 v[11:12], s[8:9], v[11:12]
	v_and_or_b32 v4, 0x1ff, v10, v9
	s_delay_alu instid0(VALU_DEP_2)
	v_and_or_b32 v11, 0x1ff, v12, v11
	v_lshrrev_b32_e32 v7, 8, v10
	v_bfe_u32 v9, v10, 20, 11
	v_lshrrev_b32_e32 v13, 8, v12
	v_cmp_ne_u32_e32 vcc_lo, 0, v4
	v_bfe_u32 v14, v12, 20, 11
	v_lshrrev_b32_e32 v10, 16, v10
	v_sub_nc_u32_e32 v15, 0x3f1, v9
	v_add_nc_u32_e32 v9, 0xfffffc10, v9
	s_wait_alu 0xfffd
	v_cndmask_b32_e64 v4, 0, 1, vcc_lo
	v_cmp_ne_u32_e32 vcc_lo, 0, v11
	s_delay_alu instid0(VALU_DEP_2) | instskip(SKIP_4) | instid1(VALU_DEP_3)
	v_and_or_b32 v7, 0xffe, v7, v4
	s_wait_alu 0xfffd
	v_cndmask_b32_e64 v11, 0, 1, vcc_lo
	v_sub_nc_u32_e32 v4, 0x3f1, v14
	v_add_nc_u32_e32 v14, 0xfffffc10, v14
	v_and_or_b32 v11, 0xffe, v13, v11
	v_med3_i32 v13, v15, 0, 13
	v_or_b32_e32 v15, 0x1000, v7
	v_med3_i32 v4, v4, 0, 13
	s_delay_alu instid0(VALU_DEP_4) | instskip(NEXT) | instid1(VALU_DEP_3)
	v_or_b32_e32 v16, 0x1000, v11
	v_lshrrev_b32_e32 v17, v13, v15
	s_delay_alu instid0(VALU_DEP_2) | instskip(NEXT) | instid1(VALU_DEP_2)
	v_lshrrev_b32_e32 v18, v4, v16
	v_lshlrev_b32_e32 v13, v13, v17
	s_delay_alu instid0(VALU_DEP_2) | instskip(NEXT) | instid1(VALU_DEP_2)
	v_lshlrev_b32_e32 v4, v4, v18
	v_cmp_ne_u32_e32 vcc_lo, v13, v15
	s_wait_alu 0xfffd
	v_cndmask_b32_e64 v13, 0, 1, vcc_lo
	s_delay_alu instid0(VALU_DEP_3) | instskip(SKIP_2) | instid1(VALU_DEP_4)
	v_cmp_ne_u32_e32 vcc_lo, v4, v16
	v_mad_co_u64_u32 v[4:5], null, 0x280, s4, v[5:6]
	v_lshl_or_b32 v6, v9, 12, v7
	v_or_b32_e32 v13, v17, v13
	s_wait_alu 0xfffd
	v_cndmask_b32_e64 v15, 0, 1, vcc_lo
	v_cmp_gt_i32_e32 vcc_lo, 1, v9
	v_lshl_or_b32 v16, v14, 12, v11
	s_delay_alu instid0(VALU_DEP_3)
	v_or_b32_e32 v15, v18, v15
	s_wait_alu 0xfffd
	v_cndmask_b32_e32 v6, v6, v13, vcc_lo
	v_cmp_gt_i32_e32 vcc_lo, 1, v14
	s_wait_alu 0xfffd
	v_cndmask_b32_e32 v13, v16, v15, vcc_lo
	v_cmp_ne_u32_e32 vcc_lo, 0, v7
	v_and_b32_e32 v15, 7, v6
	v_lshrrev_b32_e32 v6, 2, v6
	s_delay_alu instid0(VALU_DEP_4)
	v_and_b32_e32 v16, 7, v13
	s_wait_alu 0xfffd
	v_cndmask_b32_e64 v7, 0, 1, vcc_lo
	v_cmp_ne_u32_e32 vcc_lo, 0, v11
	v_cmp_eq_u32_e64 s0, 3, v15
	v_lshrrev_b32_e32 v13, 2, v13
	v_cmp_lt_i32_e64 s1, 5, v16
	v_cmp_eq_u32_e64 s2, 3, v16
	s_wait_alu 0xfffd
	v_cndmask_b32_e64 v11, 0, 1, vcc_lo
	v_cmp_lt_i32_e32 vcc_lo, 5, v15
	v_lshl_or_b32 v7, v7, 9, 0x7c00
	s_delay_alu instid0(VALU_DEP_3)
	v_lshl_or_b32 v11, v11, 9, 0x7c00
	s_or_b32 vcc_lo, s0, vcc_lo
	s_wait_alu 0xfffe
	v_add_co_ci_u32_e32 v6, vcc_lo, 0, v6, vcc_lo
	s_or_b32 vcc_lo, s2, s1
	s_wait_alu 0xfffe
	v_add_co_ci_u32_e32 v13, vcc_lo, 0, v13, vcc_lo
	v_cmp_gt_i32_e32 vcc_lo, 31, v9
	s_wait_alu 0xfffd
	v_cndmask_b32_e32 v6, 0x7c00, v6, vcc_lo
	v_cmp_gt_i32_e32 vcc_lo, 31, v14
	s_wait_alu 0xfffd
	v_cndmask_b32_e32 v13, 0x7c00, v13, vcc_lo
	v_cmp_eq_u32_e32 vcc_lo, 0x40f, v9
	s_wait_alu 0xfffd
	v_cndmask_b32_e32 v6, v6, v7, vcc_lo
	v_cmp_eq_u32_e32 vcc_lo, 0x40f, v14
	v_lshrrev_b32_e32 v7, 16, v12
	s_delay_alu instid0(VALU_DEP_3) | instskip(SKIP_3) | instid1(VALU_DEP_2)
	v_and_or_b32 v10, 0x8000, v10, v6
	s_wait_alu 0xfffd
	v_cndmask_b32_e32 v9, v13, v11, vcc_lo
	v_mad_co_u64_u32 v[5:6], null, 0x280, s5, v[5:6]
	v_and_or_b32 v6, 0x8000, v7, v9
	v_and_b32_e32 v7, 0xffff, v10
	s_delay_alu instid0(VALU_DEP_1)
	v_lshl_or_b32 v6, v6, 16, v7
	v_lshrrev_b32_e32 v7, 16, v8
	global_store_b32 v[4:5], v6, off
	global_load_b32 v6, v49, s[12:13] offset:3200
	s_wait_loadcnt 0x0
	v_lshrrev_b32_e32 v9, 16, v6
	s_delay_alu instid0(VALU_DEP_1) | instskip(SKIP_1) | instid1(VALU_DEP_2)
	v_mul_f16_e32 v10, v7, v9
	v_mul_f16_e32 v9, v8, v9
	v_fmac_f16_e32 v10, v8, v6
	s_delay_alu instid0(VALU_DEP_2) | instskip(NEXT) | instid1(VALU_DEP_2)
	v_fma_f16 v6, v6, v7, -v9
	v_cvt_f32_f16_e32 v7, v10
	s_delay_alu instid0(VALU_DEP_2) | instskip(NEXT) | instid1(VALU_DEP_2)
	v_cvt_f32_f16_e32 v8, v6
	v_cvt_f64_f32_e32 v[6:7], v7
	s_delay_alu instid0(VALU_DEP_2) | instskip(NEXT) | instid1(VALU_DEP_2)
	v_cvt_f64_f32_e32 v[8:9], v8
	v_mul_f64_e32 v[6:7], s[8:9], v[6:7]
	s_delay_alu instid0(VALU_DEP_2) | instskip(NEXT) | instid1(VALU_DEP_2)
	v_mul_f64_e32 v[8:9], s[8:9], v[8:9]
	v_and_or_b32 v6, 0x1ff, v7, v6
	s_delay_alu instid0(VALU_DEP_2)
	v_and_or_b32 v8, 0x1ff, v9, v8
	v_lshrrev_b32_e32 v10, 8, v7
	v_bfe_u32 v11, v7, 20, 11
	v_lshrrev_b32_e32 v12, 8, v9
	v_cmp_ne_u32_e32 vcc_lo, 0, v6
	v_bfe_u32 v13, v9, 20, 11
	v_lshrrev_b32_e32 v7, 16, v7
	v_sub_nc_u32_e32 v14, 0x3f1, v11
	v_add_nc_u32_e32 v11, 0xfffffc10, v11
	s_wait_alu 0xfffd
	v_cndmask_b32_e64 v6, 0, 1, vcc_lo
	v_cmp_ne_u32_e32 vcc_lo, 0, v8
	v_lshrrev_b32_e32 v9, 16, v9
	s_delay_alu instid0(VALU_DEP_3) | instskip(SKIP_4) | instid1(VALU_DEP_3)
	v_and_or_b32 v6, 0xffe, v10, v6
	s_wait_alu 0xfffd
	v_cndmask_b32_e64 v8, 0, 1, vcc_lo
	v_sub_nc_u32_e32 v10, 0x3f1, v13
	v_add_nc_u32_e32 v13, 0xfffffc10, v13
	v_and_or_b32 v8, 0xffe, v12, v8
	v_med3_i32 v12, v14, 0, 13
	v_or_b32_e32 v14, 0x1000, v6
	v_med3_i32 v10, v10, 0, 13
	s_delay_alu instid0(VALU_DEP_4) | instskip(NEXT) | instid1(VALU_DEP_3)
	v_or_b32_e32 v15, 0x1000, v8
	v_lshrrev_b32_e32 v16, v12, v14
	s_delay_alu instid0(VALU_DEP_2) | instskip(NEXT) | instid1(VALU_DEP_2)
	v_lshrrev_b32_e32 v17, v10, v15
	v_lshlrev_b32_e32 v12, v12, v16
	s_delay_alu instid0(VALU_DEP_2) | instskip(NEXT) | instid1(VALU_DEP_2)
	v_lshlrev_b32_e32 v10, v10, v17
	v_cmp_ne_u32_e32 vcc_lo, v12, v14
	v_lshl_or_b32 v14, v11, 12, v6
	s_wait_alu 0xfffd
	v_cndmask_b32_e64 v12, 0, 1, vcc_lo
	v_cmp_ne_u32_e32 vcc_lo, v10, v15
	v_lshl_or_b32 v15, v13, 12, v8
	s_delay_alu instid0(VALU_DEP_3) | instskip(SKIP_3) | instid1(VALU_DEP_2)
	v_or_b32_e32 v12, v16, v12
	s_wait_alu 0xfffd
	v_cndmask_b32_e64 v10, 0, 1, vcc_lo
	v_cmp_gt_i32_e32 vcc_lo, 1, v11
	v_or_b32_e32 v10, v17, v10
	s_wait_alu 0xfffd
	v_cndmask_b32_e32 v12, v14, v12, vcc_lo
	v_cmp_gt_i32_e32 vcc_lo, 1, v13
	s_wait_alu 0xfffd
	v_cndmask_b32_e32 v10, v15, v10, vcc_lo
	v_cmp_ne_u32_e32 vcc_lo, 0, v6
	s_delay_alu instid0(VALU_DEP_2)
	v_and_b32_e32 v15, 7, v10
	s_wait_alu 0xfffd
	v_cndmask_b32_e64 v6, 0, 1, vcc_lo
	v_and_b32_e32 v14, 7, v12
	v_cmp_ne_u32_e32 vcc_lo, 0, v8
	v_lshrrev_b32_e32 v12, 2, v12
	v_cmp_lt_i32_e64 s1, 5, v15
	v_cmp_eq_u32_e64 s2, 3, v15
	v_cmp_eq_u32_e64 s0, 3, v14
	s_wait_alu 0xfffd
	v_cndmask_b32_e64 v8, 0, 1, vcc_lo
	v_cmp_lt_i32_e32 vcc_lo, 5, v14
	v_lshrrev_b32_e32 v10, 2, v10
	v_lshl_or_b32 v6, v6, 9, 0x7c00
	s_delay_alu instid0(VALU_DEP_4)
	v_lshl_or_b32 v8, v8, 9, 0x7c00
	s_or_b32 vcc_lo, s0, vcc_lo
	s_wait_alu 0xfffe
	v_add_co_ci_u32_e32 v12, vcc_lo, 0, v12, vcc_lo
	s_or_b32 vcc_lo, s2, s1
	s_wait_alu 0xfffe
	v_add_co_ci_u32_e32 v10, vcc_lo, 0, v10, vcc_lo
	v_cmp_gt_i32_e32 vcc_lo, 31, v11
	s_wait_alu 0xfffd
	v_cndmask_b32_e32 v12, 0x7c00, v12, vcc_lo
	v_cmp_gt_i32_e32 vcc_lo, 31, v13
	s_wait_alu 0xfffd
	v_cndmask_b32_e32 v10, 0x7c00, v10, vcc_lo
	v_cmp_eq_u32_e32 vcc_lo, 0x40f, v11
	s_wait_alu 0xfffd
	v_cndmask_b32_e32 v6, v12, v6, vcc_lo
	v_cmp_eq_u32_e32 vcc_lo, 0x40f, v13
	s_delay_alu instid0(VALU_DEP_2)
	v_and_or_b32 v6, 0x8000, v7, v6
	s_wait_alu 0xfffd
	v_cndmask_b32_e32 v8, v10, v8, vcc_lo
	v_add_co_u32 v4, vcc_lo, v4, s6
	s_wait_alu 0xfffd
	v_add_co_ci_u32_e32 v5, vcc_lo, s7, v5, vcc_lo
	s_delay_alu instid0(VALU_DEP_3) | instskip(SKIP_1) | instid1(VALU_DEP_1)
	v_and_or_b32 v7, 0x8000, v9, v8
	v_and_b32_e32 v6, 0xffff, v6
	v_lshl_or_b32 v6, v7, 16, v6
	global_store_b32 v[4:5], v6, off
	global_load_b32 v8, v49, s[12:13] offset:3520
	ds_load_2addr_b32 v[6:7], v3 offset0:112 offset1:192
	s_wait_dscnt 0x0
	v_lshrrev_b32_e32 v3, 16, v6
	s_wait_loadcnt 0x0
	v_lshrrev_b32_e32 v9, 16, v8
	s_delay_alu instid0(VALU_DEP_1) | instskip(SKIP_1) | instid1(VALU_DEP_2)
	v_mul_f16_e32 v10, v3, v9
	v_mul_f16_e32 v9, v6, v9
	v_fmac_f16_e32 v10, v6, v8
	s_delay_alu instid0(VALU_DEP_2) | instskip(NEXT) | instid1(VALU_DEP_2)
	v_fma_f16 v3, v8, v3, -v9
	v_cvt_f32_f16_e32 v6, v10
	s_delay_alu instid0(VALU_DEP_2) | instskip(NEXT) | instid1(VALU_DEP_2)
	v_cvt_f32_f16_e32 v3, v3
	v_cvt_f64_f32_e32 v[8:9], v6
	s_delay_alu instid0(VALU_DEP_2) | instskip(NEXT) | instid1(VALU_DEP_2)
	v_cvt_f64_f32_e32 v[10:11], v3
	v_mul_f64_e32 v[8:9], s[8:9], v[8:9]
	s_delay_alu instid0(VALU_DEP_2) | instskip(NEXT) | instid1(VALU_DEP_2)
	v_mul_f64_e32 v[10:11], s[8:9], v[10:11]
	v_and_or_b32 v3, 0x1ff, v9, v8
	s_delay_alu instid0(VALU_DEP_2)
	v_and_or_b32 v10, 0x1ff, v11, v10
	v_lshrrev_b32_e32 v6, 8, v9
	v_bfe_u32 v8, v9, 20, 11
	v_lshrrev_b32_e32 v12, 8, v11
	v_cmp_ne_u32_e32 vcc_lo, 0, v3
	v_bfe_u32 v13, v11, 20, 11
	v_lshrrev_b32_e32 v9, 16, v9
	v_sub_nc_u32_e32 v14, 0x3f1, v8
	v_add_nc_u32_e32 v8, 0xfffffc10, v8
	s_wait_alu 0xfffd
	v_cndmask_b32_e64 v3, 0, 1, vcc_lo
	v_cmp_ne_u32_e32 vcc_lo, 0, v10
	s_delay_alu instid0(VALU_DEP_2) | instskip(SKIP_4) | instid1(VALU_DEP_3)
	v_and_or_b32 v3, 0xffe, v6, v3
	s_wait_alu 0xfffd
	v_cndmask_b32_e64 v10, 0, 1, vcc_lo
	v_sub_nc_u32_e32 v6, 0x3f1, v13
	v_add_nc_u32_e32 v13, 0xfffffc10, v13
	v_and_or_b32 v10, 0xffe, v12, v10
	v_med3_i32 v12, v14, 0, 13
	v_or_b32_e32 v14, 0x1000, v3
	v_med3_i32 v6, v6, 0, 13
	s_delay_alu instid0(VALU_DEP_4) | instskip(NEXT) | instid1(VALU_DEP_3)
	v_or_b32_e32 v15, 0x1000, v10
	v_lshrrev_b32_e32 v16, v12, v14
	s_delay_alu instid0(VALU_DEP_2) | instskip(NEXT) | instid1(VALU_DEP_2)
	v_lshrrev_b32_e32 v17, v6, v15
	v_lshlrev_b32_e32 v12, v12, v16
	s_delay_alu instid0(VALU_DEP_2) | instskip(NEXT) | instid1(VALU_DEP_2)
	v_lshlrev_b32_e32 v6, v6, v17
	v_cmp_ne_u32_e32 vcc_lo, v12, v14
	v_lshl_or_b32 v14, v8, 12, v3
	s_wait_alu 0xfffd
	v_cndmask_b32_e64 v12, 0, 1, vcc_lo
	v_cmp_ne_u32_e32 vcc_lo, v6, v15
	v_lshl_or_b32 v15, v13, 12, v10
	s_delay_alu instid0(VALU_DEP_3) | instskip(SKIP_3) | instid1(VALU_DEP_2)
	v_or_b32_e32 v12, v16, v12
	s_wait_alu 0xfffd
	v_cndmask_b32_e64 v6, 0, 1, vcc_lo
	v_cmp_gt_i32_e32 vcc_lo, 1, v8
	v_or_b32_e32 v6, v17, v6
	s_wait_alu 0xfffd
	v_cndmask_b32_e32 v12, v14, v12, vcc_lo
	v_cmp_gt_i32_e32 vcc_lo, 1, v13
	s_delay_alu instid0(VALU_DEP_2)
	v_and_b32_e32 v14, 7, v12
	s_wait_alu 0xfffd
	v_cndmask_b32_e32 v6, v15, v6, vcc_lo
	v_cmp_ne_u32_e32 vcc_lo, 0, v3
	v_lshrrev_b32_e32 v12, 2, v12
	v_cmp_eq_u32_e64 s0, 3, v14
	s_delay_alu instid0(VALU_DEP_4)
	v_and_b32_e32 v15, 7, v6
	s_wait_alu 0xfffd
	v_cndmask_b32_e64 v3, 0, 1, vcc_lo
	v_cmp_ne_u32_e32 vcc_lo, 0, v10
	v_lshrrev_b32_e32 v6, 2, v6
	v_cmp_lt_i32_e64 s1, 5, v15
	v_cmp_eq_u32_e64 s2, 3, v15
	s_wait_alu 0xfffd
	v_cndmask_b32_e64 v10, 0, 1, vcc_lo
	v_cmp_lt_i32_e32 vcc_lo, 5, v14
	v_lshl_or_b32 v3, v3, 9, 0x7c00
	s_delay_alu instid0(VALU_DEP_3)
	v_lshl_or_b32 v10, v10, 9, 0x7c00
	s_or_b32 vcc_lo, s0, vcc_lo
	s_wait_alu 0xfffe
	v_add_co_ci_u32_e32 v12, vcc_lo, 0, v12, vcc_lo
	s_or_b32 vcc_lo, s2, s1
	s_wait_alu 0xfffe
	v_add_co_ci_u32_e32 v6, vcc_lo, 0, v6, vcc_lo
	v_cmp_gt_i32_e32 vcc_lo, 31, v8
	s_wait_alu 0xfffd
	v_cndmask_b32_e32 v12, 0x7c00, v12, vcc_lo
	v_cmp_gt_i32_e32 vcc_lo, 31, v13
	s_wait_alu 0xfffd
	v_cndmask_b32_e32 v6, 0x7c00, v6, vcc_lo
	v_cmp_eq_u32_e32 vcc_lo, 0x40f, v8
	v_lshrrev_b32_e32 v8, 16, v11
	s_wait_alu 0xfffd
	v_cndmask_b32_e32 v3, v12, v3, vcc_lo
	v_cmp_eq_u32_e32 vcc_lo, 0x40f, v13
	s_delay_alu instid0(VALU_DEP_2) | instskip(SKIP_2) | instid1(VALU_DEP_1)
	v_and_or_b32 v3, 0x8000, v9, v3
	s_wait_alu 0xfffd
	v_cndmask_b32_e32 v6, v6, v10, vcc_lo
	v_and_or_b32 v6, 0x8000, v8, v6
	s_delay_alu instid0(VALU_DEP_3) | instskip(SKIP_3) | instid1(VALU_DEP_3)
	v_and_b32_e32 v8, 0xffff, v3
	v_add_co_u32 v3, vcc_lo, v4, s6
	s_wait_alu 0xfffd
	v_add_co_ci_u32_e32 v4, vcc_lo, s7, v5, vcc_lo
	v_lshl_or_b32 v5, v6, 16, v8
	v_lshrrev_b32_e32 v6, 16, v7
	global_store_b32 v[3:4], v5, off
	global_load_b32 v5, v49, s[12:13] offset:3840
	s_wait_loadcnt 0x0
	v_lshrrev_b32_e32 v8, 16, v5
	s_delay_alu instid0(VALU_DEP_1) | instskip(SKIP_1) | instid1(VALU_DEP_2)
	v_mul_f16_e32 v9, v6, v8
	v_mul_f16_e32 v8, v7, v8
	v_fmac_f16_e32 v9, v7, v5
	s_delay_alu instid0(VALU_DEP_2) | instskip(NEXT) | instid1(VALU_DEP_2)
	v_fma_f16 v5, v5, v6, -v8
	v_cvt_f32_f16_e32 v6, v9
	s_delay_alu instid0(VALU_DEP_2) | instskip(NEXT) | instid1(VALU_DEP_2)
	v_cvt_f32_f16_e32 v7, v5
	v_cvt_f64_f32_e32 v[5:6], v6
	s_delay_alu instid0(VALU_DEP_2) | instskip(NEXT) | instid1(VALU_DEP_2)
	v_cvt_f64_f32_e32 v[7:8], v7
	v_mul_f64_e32 v[5:6], s[8:9], v[5:6]
	s_delay_alu instid0(VALU_DEP_2) | instskip(NEXT) | instid1(VALU_DEP_2)
	v_mul_f64_e32 v[7:8], s[8:9], v[7:8]
	v_and_or_b32 v5, 0x1ff, v6, v5
	s_delay_alu instid0(VALU_DEP_2)
	v_and_or_b32 v7, 0x1ff, v8, v7
	v_lshrrev_b32_e32 v9, 8, v6
	v_bfe_u32 v10, v6, 20, 11
	v_lshrrev_b32_e32 v11, 8, v8
	v_cmp_ne_u32_e32 vcc_lo, 0, v5
	v_bfe_u32 v12, v8, 20, 11
	v_lshrrev_b32_e32 v6, 16, v6
	v_sub_nc_u32_e32 v13, 0x3f1, v10
	v_add_nc_u32_e32 v10, 0xfffffc10, v10
	s_wait_alu 0xfffd
	v_cndmask_b32_e64 v5, 0, 1, vcc_lo
	v_cmp_ne_u32_e32 vcc_lo, 0, v7
	v_lshrrev_b32_e32 v8, 16, v8
	s_delay_alu instid0(VALU_DEP_3) | instskip(SKIP_4) | instid1(VALU_DEP_3)
	v_and_or_b32 v5, 0xffe, v9, v5
	s_wait_alu 0xfffd
	v_cndmask_b32_e64 v7, 0, 1, vcc_lo
	v_sub_nc_u32_e32 v9, 0x3f1, v12
	v_add_nc_u32_e32 v12, 0xfffffc10, v12
	v_and_or_b32 v7, 0xffe, v11, v7
	v_med3_i32 v11, v13, 0, 13
	v_or_b32_e32 v13, 0x1000, v5
	v_med3_i32 v9, v9, 0, 13
	s_delay_alu instid0(VALU_DEP_4) | instskip(NEXT) | instid1(VALU_DEP_3)
	v_or_b32_e32 v14, 0x1000, v7
	v_lshrrev_b32_e32 v15, v11, v13
	s_delay_alu instid0(VALU_DEP_2) | instskip(NEXT) | instid1(VALU_DEP_2)
	v_lshrrev_b32_e32 v16, v9, v14
	v_lshlrev_b32_e32 v11, v11, v15
	s_delay_alu instid0(VALU_DEP_2) | instskip(NEXT) | instid1(VALU_DEP_2)
	v_lshlrev_b32_e32 v9, v9, v16
	v_cmp_ne_u32_e32 vcc_lo, v11, v13
	v_lshl_or_b32 v13, v10, 12, v5
	s_wait_alu 0xfffd
	v_cndmask_b32_e64 v11, 0, 1, vcc_lo
	v_cmp_ne_u32_e32 vcc_lo, v9, v14
	v_lshl_or_b32 v14, v12, 12, v7
	s_delay_alu instid0(VALU_DEP_3) | instskip(SKIP_3) | instid1(VALU_DEP_2)
	v_or_b32_e32 v11, v15, v11
	s_wait_alu 0xfffd
	v_cndmask_b32_e64 v9, 0, 1, vcc_lo
	v_cmp_gt_i32_e32 vcc_lo, 1, v10
	v_or_b32_e32 v9, v16, v9
	s_wait_alu 0xfffd
	v_cndmask_b32_e32 v11, v13, v11, vcc_lo
	v_cmp_gt_i32_e32 vcc_lo, 1, v12
	s_delay_alu instid0(VALU_DEP_2)
	v_and_b32_e32 v13, 7, v11
	s_wait_alu 0xfffd
	v_cndmask_b32_e32 v9, v14, v9, vcc_lo
	v_cmp_ne_u32_e32 vcc_lo, 0, v5
	v_lshrrev_b32_e32 v11, 2, v11
	v_cmp_eq_u32_e64 s0, 3, v13
	s_delay_alu instid0(VALU_DEP_4)
	v_and_b32_e32 v14, 7, v9
	s_wait_alu 0xfffd
	v_cndmask_b32_e64 v5, 0, 1, vcc_lo
	v_cmp_ne_u32_e32 vcc_lo, 0, v7
	v_lshrrev_b32_e32 v9, 2, v9
	v_cmp_lt_i32_e64 s1, 5, v14
	v_cmp_eq_u32_e64 s2, 3, v14
	s_wait_alu 0xfffd
	v_cndmask_b32_e64 v7, 0, 1, vcc_lo
	v_cmp_lt_i32_e32 vcc_lo, 5, v13
	v_lshl_or_b32 v5, v5, 9, 0x7c00
	s_delay_alu instid0(VALU_DEP_3)
	v_lshl_or_b32 v7, v7, 9, 0x7c00
	s_or_b32 vcc_lo, s0, vcc_lo
	s_wait_alu 0xfffe
	v_add_co_ci_u32_e32 v11, vcc_lo, 0, v11, vcc_lo
	s_or_b32 vcc_lo, s2, s1
	s_wait_alu 0xfffe
	v_add_co_ci_u32_e32 v9, vcc_lo, 0, v9, vcc_lo
	v_cmp_gt_i32_e32 vcc_lo, 31, v10
	s_wait_alu 0xfffd
	v_cndmask_b32_e32 v11, 0x7c00, v11, vcc_lo
	v_cmp_gt_i32_e32 vcc_lo, 31, v12
	s_wait_alu 0xfffd
	v_cndmask_b32_e32 v9, 0x7c00, v9, vcc_lo
	v_cmp_eq_u32_e32 vcc_lo, 0x40f, v10
	s_wait_alu 0xfffd
	v_cndmask_b32_e32 v5, v11, v5, vcc_lo
	v_cmp_eq_u32_e32 vcc_lo, 0x40f, v12
	s_delay_alu instid0(VALU_DEP_2)
	v_and_or_b32 v5, 0x8000, v6, v5
	s_wait_alu 0xfffd
	v_cndmask_b32_e32 v7, v9, v7, vcc_lo
	v_add_co_u32 v3, vcc_lo, v3, s6
	s_wait_alu 0xfffd
	v_add_co_ci_u32_e32 v4, vcc_lo, s7, v4, vcc_lo
	s_delay_alu instid0(VALU_DEP_3) | instskip(SKIP_1) | instid1(VALU_DEP_1)
	v_and_or_b32 v6, 0x8000, v8, v7
	v_and_b32_e32 v5, 0xffff, v5
	v_lshl_or_b32 v5, v6, 16, v5
	global_store_b32 v[3:4], v5, off
	global_load_b32 v7, v49, s[12:13] offset:4160
	ds_load_2addr_b32 v[5:6], v2 offset0:16 offset1:96
	s_wait_dscnt 0x0
	v_lshrrev_b32_e32 v2, 16, v5
	s_wait_loadcnt 0x0
	v_lshrrev_b32_e32 v8, 16, v7
	s_delay_alu instid0(VALU_DEP_1) | instskip(SKIP_1) | instid1(VALU_DEP_2)
	v_mul_f16_e32 v9, v2, v8
	v_mul_f16_e32 v8, v5, v8
	v_fmac_f16_e32 v9, v5, v7
	s_delay_alu instid0(VALU_DEP_2) | instskip(NEXT) | instid1(VALU_DEP_2)
	v_fma_f16 v2, v7, v2, -v8
	v_cvt_f32_f16_e32 v5, v9
	s_delay_alu instid0(VALU_DEP_2) | instskip(NEXT) | instid1(VALU_DEP_2)
	v_cvt_f32_f16_e32 v2, v2
	v_cvt_f64_f32_e32 v[7:8], v5
	s_delay_alu instid0(VALU_DEP_2) | instskip(NEXT) | instid1(VALU_DEP_2)
	v_cvt_f64_f32_e32 v[9:10], v2
	v_mul_f64_e32 v[7:8], s[8:9], v[7:8]
	s_delay_alu instid0(VALU_DEP_2) | instskip(NEXT) | instid1(VALU_DEP_2)
	v_mul_f64_e32 v[9:10], s[8:9], v[9:10]
	v_and_or_b32 v2, 0x1ff, v8, v7
	s_delay_alu instid0(VALU_DEP_2)
	v_and_or_b32 v9, 0x1ff, v10, v9
	v_lshrrev_b32_e32 v5, 8, v8
	v_bfe_u32 v7, v8, 20, 11
	v_lshrrev_b32_e32 v11, 8, v10
	v_cmp_ne_u32_e32 vcc_lo, 0, v2
	v_bfe_u32 v12, v10, 20, 11
	v_lshrrev_b32_e32 v8, 16, v8
	v_sub_nc_u32_e32 v13, 0x3f1, v7
	v_add_nc_u32_e32 v7, 0xfffffc10, v7
	s_wait_alu 0xfffd
	v_cndmask_b32_e64 v2, 0, 1, vcc_lo
	v_cmp_ne_u32_e32 vcc_lo, 0, v9
	s_delay_alu instid0(VALU_DEP_2) | instskip(SKIP_4) | instid1(VALU_DEP_3)
	v_and_or_b32 v2, 0xffe, v5, v2
	s_wait_alu 0xfffd
	v_cndmask_b32_e64 v9, 0, 1, vcc_lo
	v_sub_nc_u32_e32 v5, 0x3f1, v12
	v_add_nc_u32_e32 v12, 0xfffffc10, v12
	v_and_or_b32 v9, 0xffe, v11, v9
	v_med3_i32 v11, v13, 0, 13
	v_or_b32_e32 v13, 0x1000, v2
	v_med3_i32 v5, v5, 0, 13
	s_delay_alu instid0(VALU_DEP_4) | instskip(NEXT) | instid1(VALU_DEP_3)
	v_or_b32_e32 v14, 0x1000, v9
	v_lshrrev_b32_e32 v15, v11, v13
	s_delay_alu instid0(VALU_DEP_2) | instskip(NEXT) | instid1(VALU_DEP_2)
	v_lshrrev_b32_e32 v16, v5, v14
	v_lshlrev_b32_e32 v11, v11, v15
	s_delay_alu instid0(VALU_DEP_2) | instskip(NEXT) | instid1(VALU_DEP_2)
	v_lshlrev_b32_e32 v5, v5, v16
	v_cmp_ne_u32_e32 vcc_lo, v11, v13
	v_lshl_or_b32 v13, v7, 12, v2
	s_wait_alu 0xfffd
	v_cndmask_b32_e64 v11, 0, 1, vcc_lo
	v_cmp_ne_u32_e32 vcc_lo, v5, v14
	v_lshl_or_b32 v14, v12, 12, v9
	s_delay_alu instid0(VALU_DEP_3) | instskip(SKIP_3) | instid1(VALU_DEP_2)
	v_or_b32_e32 v11, v15, v11
	s_wait_alu 0xfffd
	v_cndmask_b32_e64 v5, 0, 1, vcc_lo
	v_cmp_gt_i32_e32 vcc_lo, 1, v7
	v_or_b32_e32 v5, v16, v5
	s_wait_alu 0xfffd
	v_cndmask_b32_e32 v11, v13, v11, vcc_lo
	v_cmp_gt_i32_e32 vcc_lo, 1, v12
	s_delay_alu instid0(VALU_DEP_2)
	v_and_b32_e32 v13, 7, v11
	s_wait_alu 0xfffd
	v_cndmask_b32_e32 v5, v14, v5, vcc_lo
	v_cmp_ne_u32_e32 vcc_lo, 0, v2
	v_lshrrev_b32_e32 v11, 2, v11
	v_cmp_eq_u32_e64 s0, 3, v13
	s_delay_alu instid0(VALU_DEP_4)
	v_and_b32_e32 v14, 7, v5
	s_wait_alu 0xfffd
	v_cndmask_b32_e64 v2, 0, 1, vcc_lo
	v_cmp_ne_u32_e32 vcc_lo, 0, v9
	v_lshrrev_b32_e32 v5, 2, v5
	v_cmp_lt_i32_e64 s1, 5, v14
	v_cmp_eq_u32_e64 s2, 3, v14
	s_wait_alu 0xfffd
	v_cndmask_b32_e64 v9, 0, 1, vcc_lo
	v_cmp_lt_i32_e32 vcc_lo, 5, v13
	v_lshl_or_b32 v2, v2, 9, 0x7c00
	s_delay_alu instid0(VALU_DEP_3)
	v_lshl_or_b32 v9, v9, 9, 0x7c00
	s_or_b32 vcc_lo, s0, vcc_lo
	s_wait_alu 0xfffe
	v_add_co_ci_u32_e32 v11, vcc_lo, 0, v11, vcc_lo
	s_or_b32 vcc_lo, s2, s1
	s_wait_alu 0xfffe
	v_add_co_ci_u32_e32 v5, vcc_lo, 0, v5, vcc_lo
	v_cmp_gt_i32_e32 vcc_lo, 31, v7
	s_wait_alu 0xfffd
	v_cndmask_b32_e32 v11, 0x7c00, v11, vcc_lo
	v_cmp_gt_i32_e32 vcc_lo, 31, v12
	s_wait_alu 0xfffd
	v_cndmask_b32_e32 v5, 0x7c00, v5, vcc_lo
	v_cmp_eq_u32_e32 vcc_lo, 0x40f, v7
	v_lshrrev_b32_e32 v7, 16, v10
	s_wait_alu 0xfffd
	v_cndmask_b32_e32 v2, v11, v2, vcc_lo
	v_cmp_eq_u32_e32 vcc_lo, 0x40f, v12
	s_delay_alu instid0(VALU_DEP_2) | instskip(SKIP_2) | instid1(VALU_DEP_1)
	v_and_or_b32 v2, 0x8000, v8, v2
	s_wait_alu 0xfffd
	v_cndmask_b32_e32 v5, v5, v9, vcc_lo
	v_and_or_b32 v5, 0x8000, v7, v5
	s_delay_alu instid0(VALU_DEP_3) | instskip(SKIP_3) | instid1(VALU_DEP_3)
	v_and_b32_e32 v7, 0xffff, v2
	v_add_co_u32 v2, vcc_lo, v3, s6
	s_wait_alu 0xfffd
	v_add_co_ci_u32_e32 v3, vcc_lo, s7, v4, vcc_lo
	v_lshl_or_b32 v4, v5, 16, v7
	v_lshrrev_b32_e32 v5, 16, v6
	global_store_b32 v[2:3], v4, off
	global_load_b32 v4, v49, s[12:13] offset:4480
	s_wait_loadcnt 0x0
	v_lshrrev_b32_e32 v7, 16, v4
	s_delay_alu instid0(VALU_DEP_1) | instskip(SKIP_1) | instid1(VALU_DEP_2)
	v_mul_f16_e32 v8, v5, v7
	v_mul_f16_e32 v7, v6, v7
	v_fmac_f16_e32 v8, v6, v4
	s_delay_alu instid0(VALU_DEP_2) | instskip(NEXT) | instid1(VALU_DEP_2)
	v_fma_f16 v4, v4, v5, -v7
	v_cvt_f32_f16_e32 v5, v8
	s_delay_alu instid0(VALU_DEP_2) | instskip(NEXT) | instid1(VALU_DEP_2)
	v_cvt_f32_f16_e32 v6, v4
	v_cvt_f64_f32_e32 v[4:5], v5
	s_delay_alu instid0(VALU_DEP_2) | instskip(NEXT) | instid1(VALU_DEP_2)
	v_cvt_f64_f32_e32 v[6:7], v6
	v_mul_f64_e32 v[4:5], s[8:9], v[4:5]
	s_delay_alu instid0(VALU_DEP_2) | instskip(NEXT) | instid1(VALU_DEP_2)
	v_mul_f64_e32 v[6:7], s[8:9], v[6:7]
	v_and_or_b32 v4, 0x1ff, v5, v4
	s_delay_alu instid0(VALU_DEP_2)
	v_and_or_b32 v6, 0x1ff, v7, v6
	v_lshrrev_b32_e32 v8, 8, v5
	v_bfe_u32 v9, v5, 20, 11
	v_lshrrev_b32_e32 v10, 8, v7
	v_cmp_ne_u32_e32 vcc_lo, 0, v4
	v_bfe_u32 v11, v7, 20, 11
	v_lshrrev_b32_e32 v5, 16, v5
	v_sub_nc_u32_e32 v12, 0x3f1, v9
	v_add_nc_u32_e32 v9, 0xfffffc10, v9
	s_wait_alu 0xfffd
	v_cndmask_b32_e64 v4, 0, 1, vcc_lo
	v_cmp_ne_u32_e32 vcc_lo, 0, v6
	v_lshrrev_b32_e32 v7, 16, v7
	s_delay_alu instid0(VALU_DEP_3) | instskip(SKIP_4) | instid1(VALU_DEP_3)
	v_and_or_b32 v4, 0xffe, v8, v4
	s_wait_alu 0xfffd
	v_cndmask_b32_e64 v6, 0, 1, vcc_lo
	v_sub_nc_u32_e32 v8, 0x3f1, v11
	v_add_nc_u32_e32 v11, 0xfffffc10, v11
	v_and_or_b32 v6, 0xffe, v10, v6
	v_med3_i32 v10, v12, 0, 13
	v_or_b32_e32 v12, 0x1000, v4
	v_med3_i32 v8, v8, 0, 13
	s_delay_alu instid0(VALU_DEP_4) | instskip(NEXT) | instid1(VALU_DEP_3)
	v_or_b32_e32 v13, 0x1000, v6
	v_lshrrev_b32_e32 v14, v10, v12
	s_delay_alu instid0(VALU_DEP_2) | instskip(NEXT) | instid1(VALU_DEP_2)
	v_lshrrev_b32_e32 v15, v8, v13
	v_lshlrev_b32_e32 v10, v10, v14
	s_delay_alu instid0(VALU_DEP_2) | instskip(NEXT) | instid1(VALU_DEP_2)
	v_lshlrev_b32_e32 v8, v8, v15
	v_cmp_ne_u32_e32 vcc_lo, v10, v12
	v_lshl_or_b32 v12, v9, 12, v4
	s_wait_alu 0xfffd
	v_cndmask_b32_e64 v10, 0, 1, vcc_lo
	v_cmp_ne_u32_e32 vcc_lo, v8, v13
	v_lshl_or_b32 v13, v11, 12, v6
	s_delay_alu instid0(VALU_DEP_3) | instskip(SKIP_3) | instid1(VALU_DEP_2)
	v_or_b32_e32 v10, v14, v10
	s_wait_alu 0xfffd
	v_cndmask_b32_e64 v8, 0, 1, vcc_lo
	v_cmp_gt_i32_e32 vcc_lo, 1, v9
	v_or_b32_e32 v8, v15, v8
	s_wait_alu 0xfffd
	v_cndmask_b32_e32 v10, v12, v10, vcc_lo
	v_cmp_gt_i32_e32 vcc_lo, 1, v11
	s_delay_alu instid0(VALU_DEP_2)
	v_and_b32_e32 v12, 7, v10
	s_wait_alu 0xfffd
	v_cndmask_b32_e32 v8, v13, v8, vcc_lo
	v_cmp_ne_u32_e32 vcc_lo, 0, v4
	v_lshrrev_b32_e32 v10, 2, v10
	v_cmp_eq_u32_e64 s0, 3, v12
	s_delay_alu instid0(VALU_DEP_4)
	v_and_b32_e32 v13, 7, v8
	s_wait_alu 0xfffd
	v_cndmask_b32_e64 v4, 0, 1, vcc_lo
	v_cmp_ne_u32_e32 vcc_lo, 0, v6
	v_lshrrev_b32_e32 v8, 2, v8
	v_cmp_lt_i32_e64 s1, 5, v13
	v_cmp_eq_u32_e64 s2, 3, v13
	s_wait_alu 0xfffd
	v_cndmask_b32_e64 v6, 0, 1, vcc_lo
	v_cmp_lt_i32_e32 vcc_lo, 5, v12
	v_lshl_or_b32 v4, v4, 9, 0x7c00
	s_delay_alu instid0(VALU_DEP_3)
	v_lshl_or_b32 v6, v6, 9, 0x7c00
	s_or_b32 vcc_lo, s0, vcc_lo
	s_wait_alu 0xfffe
	v_add_co_ci_u32_e32 v10, vcc_lo, 0, v10, vcc_lo
	s_or_b32 vcc_lo, s2, s1
	s_wait_alu 0xfffe
	v_add_co_ci_u32_e32 v8, vcc_lo, 0, v8, vcc_lo
	v_cmp_gt_i32_e32 vcc_lo, 31, v9
	s_wait_alu 0xfffd
	v_cndmask_b32_e32 v10, 0x7c00, v10, vcc_lo
	v_cmp_gt_i32_e32 vcc_lo, 31, v11
	s_wait_alu 0xfffd
	v_cndmask_b32_e32 v8, 0x7c00, v8, vcc_lo
	v_cmp_eq_u32_e32 vcc_lo, 0x40f, v9
	s_wait_alu 0xfffd
	v_cndmask_b32_e32 v4, v10, v4, vcc_lo
	v_cmp_eq_u32_e32 vcc_lo, 0x40f, v11
	s_delay_alu instid0(VALU_DEP_2)
	v_and_or_b32 v4, 0x8000, v5, v4
	s_wait_alu 0xfffd
	v_cndmask_b32_e32 v6, v8, v6, vcc_lo
	v_add_co_u32 v2, vcc_lo, v2, s6
	s_wait_alu 0xfffd
	v_add_co_ci_u32_e32 v3, vcc_lo, s7, v3, vcc_lo
	s_delay_alu instid0(VALU_DEP_3) | instskip(SKIP_1) | instid1(VALU_DEP_1)
	v_and_or_b32 v5, 0x8000, v7, v6
	v_and_b32_e32 v4, 0xffff, v4
	v_lshl_or_b32 v4, v5, 16, v4
	global_store_b32 v[2:3], v4, off
	global_load_b32 v6, v49, s[12:13] offset:4800
	v_add_nc_u32_e32 v4, 0x1200, v53
	ds_load_2addr_b32 v[4:5], v4 offset0:48 offset1:128
	s_wait_dscnt 0x0
	v_lshrrev_b32_e32 v7, 16, v4
	s_wait_loadcnt 0x0
	v_lshrrev_b32_e32 v8, 16, v6
	s_delay_alu instid0(VALU_DEP_1) | instskip(SKIP_1) | instid1(VALU_DEP_2)
	v_mul_f16_e32 v9, v7, v8
	v_mul_f16_e32 v8, v4, v8
	v_fmac_f16_e32 v9, v4, v6
	s_delay_alu instid0(VALU_DEP_2) | instskip(NEXT) | instid1(VALU_DEP_2)
	v_fma_f16 v4, v6, v7, -v8
	v_cvt_f32_f16_e32 v6, v9
	s_delay_alu instid0(VALU_DEP_2) | instskip(NEXT) | instid1(VALU_DEP_2)
	v_cvt_f32_f16_e32 v4, v4
	v_cvt_f64_f32_e32 v[6:7], v6
	s_delay_alu instid0(VALU_DEP_2) | instskip(NEXT) | instid1(VALU_DEP_2)
	v_cvt_f64_f32_e32 v[8:9], v4
	v_mul_f64_e32 v[6:7], s[8:9], v[6:7]
	s_delay_alu instid0(VALU_DEP_2) | instskip(NEXT) | instid1(VALU_DEP_2)
	v_mul_f64_e32 v[8:9], s[8:9], v[8:9]
	v_and_or_b32 v4, 0x1ff, v7, v6
	s_delay_alu instid0(VALU_DEP_2)
	v_and_or_b32 v8, 0x1ff, v9, v8
	v_lshrrev_b32_e32 v6, 8, v7
	v_bfe_u32 v10, v7, 20, 11
	v_lshrrev_b32_e32 v11, 8, v9
	v_cmp_ne_u32_e32 vcc_lo, 0, v4
	v_bfe_u32 v12, v9, 20, 11
	v_lshrrev_b32_e32 v7, 16, v7
	v_sub_nc_u32_e32 v13, 0x3f1, v10
	v_add_nc_u32_e32 v10, 0xfffffc10, v10
	s_wait_alu 0xfffd
	v_cndmask_b32_e64 v4, 0, 1, vcc_lo
	v_cmp_ne_u32_e32 vcc_lo, 0, v8
	v_lshrrev_b32_e32 v9, 16, v9
	s_delay_alu instid0(VALU_DEP_3) | instskip(SKIP_4) | instid1(VALU_DEP_3)
	v_and_or_b32 v4, 0xffe, v6, v4
	s_wait_alu 0xfffd
	v_cndmask_b32_e64 v8, 0, 1, vcc_lo
	v_sub_nc_u32_e32 v6, 0x3f1, v12
	v_add_nc_u32_e32 v12, 0xfffffc10, v12
	v_and_or_b32 v8, 0xffe, v11, v8
	v_med3_i32 v11, v13, 0, 13
	v_or_b32_e32 v13, 0x1000, v4
	v_med3_i32 v6, v6, 0, 13
	s_delay_alu instid0(VALU_DEP_4) | instskip(NEXT) | instid1(VALU_DEP_3)
	v_or_b32_e32 v14, 0x1000, v8
	v_lshrrev_b32_e32 v15, v11, v13
	s_delay_alu instid0(VALU_DEP_2) | instskip(NEXT) | instid1(VALU_DEP_2)
	v_lshrrev_b32_e32 v16, v6, v14
	v_lshlrev_b32_e32 v11, v11, v15
	s_delay_alu instid0(VALU_DEP_2) | instskip(NEXT) | instid1(VALU_DEP_2)
	v_lshlrev_b32_e32 v6, v6, v16
	v_cmp_ne_u32_e32 vcc_lo, v11, v13
	v_lshl_or_b32 v13, v10, 12, v4
	s_wait_alu 0xfffd
	v_cndmask_b32_e64 v11, 0, 1, vcc_lo
	v_cmp_ne_u32_e32 vcc_lo, v6, v14
	v_lshl_or_b32 v14, v12, 12, v8
	s_delay_alu instid0(VALU_DEP_3) | instskip(SKIP_3) | instid1(VALU_DEP_2)
	v_or_b32_e32 v11, v15, v11
	s_wait_alu 0xfffd
	v_cndmask_b32_e64 v6, 0, 1, vcc_lo
	v_cmp_gt_i32_e32 vcc_lo, 1, v10
	v_or_b32_e32 v6, v16, v6
	s_wait_alu 0xfffd
	v_cndmask_b32_e32 v11, v13, v11, vcc_lo
	v_cmp_gt_i32_e32 vcc_lo, 1, v12
	s_wait_alu 0xfffd
	s_delay_alu instid0(VALU_DEP_2) | instskip(SKIP_2) | instid1(VALU_DEP_3)
	v_dual_cndmask_b32 v6, v14, v6 :: v_dual_and_b32 v13, 7, v11
	v_cmp_ne_u32_e32 vcc_lo, 0, v4
	v_lshrrev_b32_e32 v11, 2, v11
	v_cmp_eq_u32_e64 s0, 3, v13
	s_delay_alu instid0(VALU_DEP_4)
	v_and_b32_e32 v14, 7, v6
	s_wait_alu 0xfffd
	v_cndmask_b32_e64 v4, 0, 1, vcc_lo
	v_cmp_ne_u32_e32 vcc_lo, 0, v8
	v_lshrrev_b32_e32 v6, 2, v6
	v_cmp_lt_i32_e64 s1, 5, v14
	v_cmp_eq_u32_e64 s2, 3, v14
	s_wait_alu 0xfffd
	v_cndmask_b32_e64 v8, 0, 1, vcc_lo
	v_cmp_lt_i32_e32 vcc_lo, 5, v13
	v_lshl_or_b32 v4, v4, 9, 0x7c00
	s_delay_alu instid0(VALU_DEP_3)
	v_lshl_or_b32 v8, v8, 9, 0x7c00
	s_or_b32 vcc_lo, s0, vcc_lo
	s_wait_alu 0xfffe
	v_add_co_ci_u32_e32 v11, vcc_lo, 0, v11, vcc_lo
	s_or_b32 vcc_lo, s2, s1
	s_wait_alu 0xfffe
	v_add_co_ci_u32_e32 v6, vcc_lo, 0, v6, vcc_lo
	v_cmp_gt_i32_e32 vcc_lo, 31, v10
	s_wait_alu 0xfffd
	v_cndmask_b32_e32 v11, 0x7c00, v11, vcc_lo
	v_cmp_gt_i32_e32 vcc_lo, 31, v12
	s_wait_alu 0xfffd
	v_cndmask_b32_e32 v6, 0x7c00, v6, vcc_lo
	v_cmp_eq_u32_e32 vcc_lo, 0x40f, v10
	s_wait_alu 0xfffd
	v_cndmask_b32_e32 v4, v11, v4, vcc_lo
	v_cmp_eq_u32_e32 vcc_lo, 0x40f, v12
	s_delay_alu instid0(VALU_DEP_2)
	v_and_or_b32 v4, 0x8000, v7, v4
	s_wait_alu 0xfffd
	v_cndmask_b32_e32 v6, v6, v8, vcc_lo
	v_add_co_u32 v2, vcc_lo, v2, s6
	s_wait_alu 0xfffd
	v_add_co_ci_u32_e32 v3, vcc_lo, s7, v3, vcc_lo
	s_delay_alu instid0(VALU_DEP_3) | instskip(SKIP_1) | instid1(VALU_DEP_1)
	v_and_or_b32 v6, 0x8000, v9, v6
	v_and_b32_e32 v4, 0xffff, v4
	v_lshl_or_b32 v4, v6, 16, v4
	global_store_b32 v[2:3], v4, off
	global_load_b32 v2, v49, s[12:13] offset:5120
	v_lshrrev_b32_e32 v3, 16, v5
	s_wait_loadcnt 0x0
	v_lshrrev_b32_e32 v4, 16, v2
	s_delay_alu instid0(VALU_DEP_1) | instskip(SKIP_1) | instid1(VALU_DEP_2)
	v_mul_f16_e32 v6, v3, v4
	v_mul_f16_e32 v4, v5, v4
	v_fmac_f16_e32 v6, v5, v2
	s_delay_alu instid0(VALU_DEP_2) | instskip(NEXT) | instid1(VALU_DEP_2)
	v_fma_f16 v2, v2, v3, -v4
	v_cvt_f32_f16_e32 v3, v6
	s_delay_alu instid0(VALU_DEP_2) | instskip(NEXT) | instid1(VALU_DEP_2)
	v_cvt_f32_f16_e32 v4, v2
	v_cvt_f64_f32_e32 v[2:3], v3
	s_delay_alu instid0(VALU_DEP_2) | instskip(NEXT) | instid1(VALU_DEP_2)
	v_cvt_f64_f32_e32 v[4:5], v4
	v_mul_f64_e32 v[2:3], s[8:9], v[2:3]
	s_delay_alu instid0(VALU_DEP_2) | instskip(NEXT) | instid1(VALU_DEP_2)
	v_mul_f64_e32 v[4:5], s[8:9], v[4:5]
	v_and_or_b32 v2, 0x1ff, v3, v2
	s_delay_alu instid0(VALU_DEP_2)
	v_and_or_b32 v4, 0x1ff, v5, v4
	v_lshrrev_b32_e32 v6, 8, v3
	v_bfe_u32 v8, v3, 20, 11
	v_bfe_u32 v9, v5, 20, 11
	v_cmp_ne_u32_e32 vcc_lo, 0, v2
	v_lshrrev_b32_e32 v7, 8, v5
	v_lshrrev_b32_e32 v5, 16, v5
	v_sub_nc_u32_e32 v10, 0x3f1, v8
	v_sub_nc_u32_e32 v11, 0x3f1, v9
	s_wait_alu 0xfffd
	v_cndmask_b32_e64 v2, 0, 1, vcc_lo
	v_cmp_ne_u32_e32 vcc_lo, 0, v4
	v_add_nc_u32_e32 v9, 0xfffffc10, v9
	s_delay_alu instid0(VALU_DEP_3)
	v_and_or_b32 v12, 0xffe, v6, v2
	s_wait_alu 0xfffd
	v_cndmask_b32_e64 v4, 0, 1, vcc_lo
	v_med3_i32 v2, v10, 0, 13
	v_med3_i32 v10, v11, 0, 13
	v_or_b32_e32 v11, 0x1000, v12
	s_delay_alu instid0(VALU_DEP_4) | instskip(SKIP_1) | instid1(VALU_DEP_3)
	v_and_or_b32 v4, 0xffe, v7, v4
	v_mad_co_u64_u32 v[6:7], null, s4, v202, 0
	v_lshrrev_b32_e32 v14, v2, v11
	s_delay_alu instid0(VALU_DEP_3) | instskip(NEXT) | instid1(VALU_DEP_2)
	v_or_b32_e32 v13, 0x1000, v4
	v_lshlrev_b32_e32 v16, v2, v14
	s_delay_alu instid0(VALU_DEP_2) | instskip(SKIP_1) | instid1(VALU_DEP_3)
	v_lshrrev_b32_e32 v15, v10, v13
	v_mov_b32_e32 v2, v7
	v_cmp_ne_u32_e32 vcc_lo, v16, v11
	s_delay_alu instid0(VALU_DEP_3) | instskip(SKIP_3) | instid1(VALU_DEP_3)
	v_lshlrev_b32_e32 v7, v10, v15
	v_add_nc_u32_e32 v10, 0xfffffc10, v8
	s_wait_alu 0xfffd
	v_cndmask_b32_e64 v11, 0, 1, vcc_lo
	v_cmp_ne_u32_e32 vcc_lo, v7, v13
	v_mad_co_u64_u32 v[7:8], null, s5, v202, v[2:3]
	v_lshl_or_b32 v2, v10, 12, v12
	s_delay_alu instid0(VALU_DEP_4)
	v_or_b32_e32 v8, v14, v11
	s_wait_alu 0xfffd
	v_cndmask_b32_e64 v13, 0, 1, vcc_lo
	v_cmp_gt_i32_e32 vcc_lo, 1, v10
	v_lshl_or_b32 v11, v9, 12, v4
	v_lshrrev_b32_e32 v3, 16, v3
	s_delay_alu instid0(VALU_DEP_4)
	v_or_b32_e32 v13, v15, v13
	s_wait_alu 0xfffd
	v_cndmask_b32_e32 v2, v2, v8, vcc_lo
	v_cmp_gt_i32_e32 vcc_lo, 1, v9
	s_wait_alu 0xfffd
	v_cndmask_b32_e32 v8, v11, v13, vcc_lo
	v_cmp_ne_u32_e32 vcc_lo, 0, v12
	v_and_b32_e32 v12, 7, v2
	v_lshrrev_b32_e32 v2, 2, v2
	s_delay_alu instid0(VALU_DEP_4)
	v_and_b32_e32 v13, 7, v8
	s_wait_alu 0xfffd
	v_cndmask_b32_e64 v11, 0, 1, vcc_lo
	v_cmp_ne_u32_e32 vcc_lo, 0, v4
	v_cmp_eq_u32_e64 s0, 3, v12
	v_lshrrev_b32_e32 v8, 2, v8
	v_cmp_lt_i32_e64 s1, 5, v13
	v_cmp_eq_u32_e64 s2, 3, v13
	s_wait_alu 0xfffd
	v_cndmask_b32_e64 v4, 0, 1, vcc_lo
	v_cmp_lt_i32_e32 vcc_lo, 5, v12
	v_lshl_or_b32 v11, v11, 9, 0x7c00
	s_delay_alu instid0(VALU_DEP_3)
	v_lshl_or_b32 v4, v4, 9, 0x7c00
	s_or_b32 vcc_lo, s0, vcc_lo
	s_wait_alu 0xfffe
	v_add_co_ci_u32_e32 v2, vcc_lo, 0, v2, vcc_lo
	s_or_b32 vcc_lo, s2, s1
	s_wait_alu 0xfffe
	v_add_co_ci_u32_e32 v8, vcc_lo, 0, v8, vcc_lo
	v_cmp_gt_i32_e32 vcc_lo, 31, v10
	s_wait_alu 0xfffd
	v_cndmask_b32_e32 v2, 0x7c00, v2, vcc_lo
	v_cmp_gt_i32_e32 vcc_lo, 31, v9
	s_wait_alu 0xfffd
	v_cndmask_b32_e32 v8, 0x7c00, v8, vcc_lo
	v_cmp_eq_u32_e32 vcc_lo, 0x40f, v10
	s_wait_alu 0xfffd
	v_cndmask_b32_e32 v2, v2, v11, vcc_lo
	v_cmp_eq_u32_e32 vcc_lo, 0x40f, v9
	s_delay_alu instid0(VALU_DEP_2) | instskip(SKIP_2) | instid1(VALU_DEP_1)
	v_and_or_b32 v2, 0x8000, v3, v2
	s_wait_alu 0xfffd
	v_cndmask_b32_e32 v4, v8, v4, vcc_lo
	v_and_or_b32 v4, 0x8000, v5, v4
	s_delay_alu instid0(VALU_DEP_3) | instskip(SKIP_1) | instid1(VALU_DEP_2)
	v_and_b32_e32 v5, 0xffff, v2
	v_lshlrev_b64_e32 v[2:3], 2, v[6:7]
	v_lshl_or_b32 v4, v4, 16, v5
	s_delay_alu instid0(VALU_DEP_2) | instskip(SKIP_1) | instid1(VALU_DEP_3)
	v_add_co_u32 v0, vcc_lo, v0, v2
	s_wait_alu 0xfffd
	v_add_co_ci_u32_e32 v1, vcc_lo, v1, v3, vcc_lo
	global_store_b32 v[0:1], v4, off
.LBB0_23:
	s_nop 0
	s_sendmsg sendmsg(MSG_DEALLOC_VGPRS)
	s_endpgm
	.section	.rodata,"a",@progbits
	.p2align	6, 0x0
	.amdhsa_kernel bluestein_single_fwd_len1360_dim1_half_op_CI_CI
		.amdhsa_group_segment_fixed_size 16320
		.amdhsa_private_segment_fixed_size 56
		.amdhsa_kernarg_size 104
		.amdhsa_user_sgpr_count 2
		.amdhsa_user_sgpr_dispatch_ptr 0
		.amdhsa_user_sgpr_queue_ptr 0
		.amdhsa_user_sgpr_kernarg_segment_ptr 1
		.amdhsa_user_sgpr_dispatch_id 0
		.amdhsa_user_sgpr_private_segment_size 0
		.amdhsa_wavefront_size32 1
		.amdhsa_uses_dynamic_stack 0
		.amdhsa_enable_private_segment 1
		.amdhsa_system_sgpr_workgroup_id_x 1
		.amdhsa_system_sgpr_workgroup_id_y 0
		.amdhsa_system_sgpr_workgroup_id_z 0
		.amdhsa_system_sgpr_workgroup_info 0
		.amdhsa_system_vgpr_workitem_id 0
		.amdhsa_next_free_vgpr 256
		.amdhsa_next_free_sgpr 16
		.amdhsa_reserve_vcc 1
		.amdhsa_float_round_mode_32 0
		.amdhsa_float_round_mode_16_64 0
		.amdhsa_float_denorm_mode_32 3
		.amdhsa_float_denorm_mode_16_64 3
		.amdhsa_fp16_overflow 0
		.amdhsa_workgroup_processor_mode 1
		.amdhsa_memory_ordered 1
		.amdhsa_forward_progress 0
		.amdhsa_round_robin_scheduling 0
		.amdhsa_exception_fp_ieee_invalid_op 0
		.amdhsa_exception_fp_denorm_src 0
		.amdhsa_exception_fp_ieee_div_zero 0
		.amdhsa_exception_fp_ieee_overflow 0
		.amdhsa_exception_fp_ieee_underflow 0
		.amdhsa_exception_fp_ieee_inexact 0
		.amdhsa_exception_int_div_zero 0
	.end_amdhsa_kernel
	.text
.Lfunc_end0:
	.size	bluestein_single_fwd_len1360_dim1_half_op_CI_CI, .Lfunc_end0-bluestein_single_fwd_len1360_dim1_half_op_CI_CI
                                        ; -- End function
	.section	.AMDGPU.csdata,"",@progbits
; Kernel info:
; codeLenInByte = 38584
; NumSgprs: 18
; NumVgprs: 256
; ScratchSize: 56
; MemoryBound: 0
; FloatMode: 240
; IeeeMode: 1
; LDSByteSize: 16320 bytes/workgroup (compile time only)
; SGPRBlocks: 2
; VGPRBlocks: 31
; NumSGPRsForWavesPerEU: 18
; NumVGPRsForWavesPerEU: 256
; Occupancy: 5
; WaveLimiterHint : 1
; COMPUTE_PGM_RSRC2:SCRATCH_EN: 1
; COMPUTE_PGM_RSRC2:USER_SGPR: 2
; COMPUTE_PGM_RSRC2:TRAP_HANDLER: 0
; COMPUTE_PGM_RSRC2:TGID_X_EN: 1
; COMPUTE_PGM_RSRC2:TGID_Y_EN: 0
; COMPUTE_PGM_RSRC2:TGID_Z_EN: 0
; COMPUTE_PGM_RSRC2:TIDIG_COMP_CNT: 0
	.text
	.p2alignl 7, 3214868480
	.fill 96, 4, 3214868480
	.type	__hip_cuid_655e7a6b3b7fda02,@object ; @__hip_cuid_655e7a6b3b7fda02
	.section	.bss,"aw",@nobits
	.globl	__hip_cuid_655e7a6b3b7fda02
__hip_cuid_655e7a6b3b7fda02:
	.byte	0                               ; 0x0
	.size	__hip_cuid_655e7a6b3b7fda02, 1

	.ident	"AMD clang version 19.0.0git (https://github.com/RadeonOpenCompute/llvm-project roc-6.4.0 25133 c7fe45cf4b819c5991fe208aaa96edf142730f1d)"
	.section	".note.GNU-stack","",@progbits
	.addrsig
	.addrsig_sym __hip_cuid_655e7a6b3b7fda02
	.amdgpu_metadata
---
amdhsa.kernels:
  - .args:
      - .actual_access:  read_only
        .address_space:  global
        .offset:         0
        .size:           8
        .value_kind:     global_buffer
      - .actual_access:  read_only
        .address_space:  global
        .offset:         8
        .size:           8
        .value_kind:     global_buffer
      - .actual_access:  read_only
        .address_space:  global
        .offset:         16
        .size:           8
        .value_kind:     global_buffer
      - .actual_access:  read_only
        .address_space:  global
        .offset:         24
        .size:           8
        .value_kind:     global_buffer
      - .actual_access:  read_only
        .address_space:  global
        .offset:         32
        .size:           8
        .value_kind:     global_buffer
      - .offset:         40
        .size:           8
        .value_kind:     by_value
      - .address_space:  global
        .offset:         48
        .size:           8
        .value_kind:     global_buffer
      - .address_space:  global
        .offset:         56
        .size:           8
        .value_kind:     global_buffer
      - .address_space:  global
        .offset:         64
        .size:           8
        .value_kind:     global_buffer
      - .address_space:  global
        .offset:         72
        .size:           8
        .value_kind:     global_buffer
      - .offset:         80
        .size:           4
        .value_kind:     by_value
      - .address_space:  global
        .offset:         88
        .size:           8
        .value_kind:     global_buffer
      - .address_space:  global
        .offset:         96
        .size:           8
        .value_kind:     global_buffer
    .group_segment_fixed_size: 16320
    .kernarg_segment_align: 8
    .kernarg_segment_size: 104
    .language:       OpenCL C
    .language_version:
      - 2
      - 0
    .max_flat_workgroup_size: 255
    .name:           bluestein_single_fwd_len1360_dim1_half_op_CI_CI
    .private_segment_fixed_size: 56
    .sgpr_count:     18
    .sgpr_spill_count: 0
    .symbol:         bluestein_single_fwd_len1360_dim1_half_op_CI_CI.kd
    .uniform_work_group_size: 1
    .uses_dynamic_stack: false
    .vgpr_count:     256
    .vgpr_spill_count: 13
    .wavefront_size: 32
    .workgroup_processor_mode: 1
amdhsa.target:   amdgcn-amd-amdhsa--gfx1201
amdhsa.version:
  - 1
  - 2
...

	.end_amdgpu_metadata
